;; amdgpu-corpus repo=ROCm/rocFFT kind=compiled arch=gfx1100 opt=O3
	.text
	.amdgcn_target "amdgcn-amd-amdhsa--gfx1100"
	.amdhsa_code_object_version 6
	.protected	bluestein_single_fwd_len528_dim1_dp_op_CI_CI ; -- Begin function bluestein_single_fwd_len528_dim1_dp_op_CI_CI
	.globl	bluestein_single_fwd_len528_dim1_dp_op_CI_CI
	.p2align	8
	.type	bluestein_single_fwd_len528_dim1_dp_op_CI_CI,@function
bluestein_single_fwd_len528_dim1_dp_op_CI_CI: ; @bluestein_single_fwd_len528_dim1_dp_op_CI_CI
; %bb.0:
	s_load_b128 s[8:11], s[0:1], 0x28
	v_mul_u32_u24_e32 v1, 0x556, v0
	s_mov_b32 s2, exec_lo
	v_mov_b32_e32 v3, 0
	s_delay_alu instid0(VALU_DEP_2) | instskip(NEXT) | instid1(VALU_DEP_1)
	v_lshrrev_b32_e32 v1, 16, v1
	v_add_nc_u32_e32 v2, s15, v1
	s_waitcnt lgkmcnt(0)
	s_delay_alu instid0(VALU_DEP_1)
	v_cmpx_gt_u64_e64 s[8:9], v[2:3]
	s_cbranch_execz .LBB0_31
; %bb.1:
	s_load_b128 s[4:7], s[0:1], 0x18
	v_mul_lo_u16 v1, v1, 48
	s_waitcnt lgkmcnt(0)
	s_load_b128 s[12:15], s[4:5], 0x0
	s_load_b64 s[2:3], s[0:1], 0x0
	s_delay_alu instid0(VALU_DEP_1) | instskip(NEXT) | instid1(VALU_DEP_1)
	v_sub_nc_u16 v0, v0, v1
	v_dual_mov_b32 v1, v2 :: v_dual_and_b32 v4, 0xffff, v0
	s_waitcnt lgkmcnt(0)
	v_mad_u64_u32 v[24:25], null, s14, v2, 0
	s_delay_alu instid0(VALU_DEP_2) | instskip(SKIP_4) | instid1(VALU_DEP_3)
	v_lshlrev_b32_e32 v155, 4, v4
	v_mad_u64_u32 v[26:27], null, s12, v4, 0
	s_mul_hi_u32 s5, s12, 0x84
	s_mul_hi_u32 s9, s12, 0xfffffea4
	s_mul_i32 s8, s13, 0xfffffea4
	v_mov_b32_e32 v8, v25
	s_clause 0x1
	global_load_b128 v[9:12], v155, s[2:3]
	global_load_b128 v[17:20], v155, s[2:3] offset:768
	v_add_co_u32 v140, s4, s2, v155
	v_mov_b32_e32 v16, v27
	v_add_co_ci_u32_e64 v141, null, s3, 0, s4
	s_delay_alu instid0(VALU_DEP_3)
	v_add_co_u32 v5, vcc_lo, 0x1000, v140
	scratch_store_b64 off, v[1:2], off      ; 8-byte Folded Spill
	v_add_co_ci_u32_e32 v6, vcc_lo, 0, v141, vcc_lo
	s_clause 0x1
	global_load_b128 v[98:101], v155, s[2:3] offset:2112
	global_load_b128 v[102:105], v155, s[2:3] offset:2880
	s_mul_i32 s3, s13, 0x84
	s_mul_i32 s2, s12, 0x84
	s_add_i32 s3, s5, s3
	s_sub_i32 s5, s9, s12
	s_mul_i32 s4, s12, 0xfffffea4
	s_add_i32 s5, s5, s8
	s_waitcnt vmcnt(3)
	v_mad_u64_u32 v[27:28], null, s15, v2, v[8:9]
	s_waitcnt vmcnt(2)
	v_mad_u64_u32 v[28:29], null, s13, v4, v[16:17]
	s_clause 0x1
	global_load_b128 v[106:109], v[5:6], off offset:128
	global_load_b128 v[13:16], v[5:6], off offset:2240
	v_mov_b32_e32 v25, v27
	v_mov_b32_e32 v27, v28
	s_delay_alu instid0(VALU_DEP_2) | instskip(NEXT) | instid1(VALU_DEP_2)
	v_lshlrev_b64 v[24:25], 4, v[24:25]
	v_lshlrev_b64 v[26:27], 4, v[26:27]
	s_delay_alu instid0(VALU_DEP_2) | instskip(NEXT) | instid1(VALU_DEP_3)
	v_add_co_u32 v1, vcc_lo, s10, v24
	v_add_co_ci_u32_e32 v2, vcc_lo, s11, v25, vcc_lo
	s_lshl_b64 s[10:11], s[2:3], 4
	s_delay_alu instid0(VALU_DEP_2) | instskip(NEXT) | instid1(VALU_DEP_2)
	v_add_co_u32 v24, vcc_lo, v1, v26
	v_add_co_ci_u32_e32 v25, vcc_lo, v2, v27, vcc_lo
	s_lshl_b64 s[2:3], s[4:5], 4
	s_delay_alu instid0(VALU_DEP_2) | instskip(NEXT) | instid1(VALU_DEP_2)
	v_add_co_u32 v26, vcc_lo, v24, s10
	v_add_co_ci_u32_e32 v27, vcc_lo, s11, v25, vcc_lo
	s_clause 0x1
	global_load_b128 v[34:37], v[24:25], off
	global_load_b128 v[38:41], v[26:27], off
	v_add_co_u32 v28, vcc_lo, v26, s10
	v_add_co_ci_u32_e32 v29, vcc_lo, s11, v27, vcc_lo
	s_delay_alu instid0(VALU_DEP_2) | instskip(NEXT) | instid1(VALU_DEP_2)
	v_add_co_u32 v30, vcc_lo, v28, s10
	v_add_co_ci_u32_e32 v31, vcc_lo, s11, v29, vcc_lo
	s_clause 0x1
	global_load_b128 v[42:45], v[28:29], off
	global_load_b128 v[46:49], v[30:31], off
	v_add_co_u32 v24, vcc_lo, v30, s2
	v_add_co_ci_u32_e32 v25, vcc_lo, s3, v31, vcc_lo
	s_delay_alu instid0(VALU_DEP_2) | instskip(NEXT) | instid1(VALU_DEP_2)
	v_add_co_u32 v26, vcc_lo, v24, s10
	v_add_co_ci_u32_e32 v27, vcc_lo, s11, v25, vcc_lo
	global_load_b128 v[50:53], v[24:25], off
	v_add_co_u32 v28, vcc_lo, v26, s10
	v_add_co_ci_u32_e32 v29, vcc_lo, s11, v27, vcc_lo
	global_load_b128 v[54:57], v[26:27], off
	v_add_co_u32 v32, vcc_lo, v28, s10
	v_add_co_ci_u32_e32 v33, vcc_lo, s11, v29, vcc_lo
	global_load_b128 v[24:27], v[5:6], off offset:896
	global_load_b128 v[58:61], v[28:29], off
	scratch_store_b64 off, v[5:6], off offset:12 ; 8-byte Folded Spill
	global_load_b128 v[28:31], v[5:6], off offset:3008
	global_load_b128 v[62:65], v[32:33], off
	s_clause 0x1
	scratch_store_b128 off, v[9:12], off offset:20
	scratch_store_b128 off, v[17:20], off offset:36
	s_waitcnt vmcnt(13)
	scratch_store_b128 off, v[98:101], off offset:52 ; 16-byte Folded Spill
	s_waitcnt vmcnt(12)
	scratch_store_b128 off, v[102:105], off offset:68 ; 16-byte Folded Spill
	v_cmp_gt_u16_e32 vcc_lo, 36, v0
	s_waitcnt vmcnt(11)
	scratch_store_b128 off, v[106:109], off offset:100 ; 16-byte Folded Spill
	s_waitcnt vmcnt(10)
	scratch_store_b128 off, v[13:16], off offset:84 ; 16-byte Folded Spill
	s_load_b64 s[8:9], s[0:1], 0x38
	s_load_b128 s[4:7], s[6:7], 0x0
	s_waitcnt vmcnt(9)
	v_mul_f64 v[66:67], v[36:37], v[11:12]
	v_mul_f64 v[68:69], v[34:35], v[11:12]
	s_waitcnt vmcnt(8)
	v_mul_f64 v[70:71], v[40:41], v[100:101]
	v_mul_f64 v[72:73], v[38:39], v[100:101]
	;; [unrolled: 3-line block ×8, first 2 shown]
	v_fma_f64 v[34:35], v[34:35], v[9:10], v[66:67]
	v_fma_f64 v[36:37], v[36:37], v[9:10], -v[68:69]
	v_fma_f64 v[38:39], v[38:39], v[98:99], v[70:71]
	v_fma_f64 v[40:41], v[40:41], v[98:99], -v[72:73]
	;; [unrolled: 2-line block ×6, first 2 shown]
	ds_store_b128 v155, v[34:37]
	ds_store_b128 v155, v[50:53] offset:768
	ds_store_b128 v155, v[38:41] offset:2112
	;; [unrolled: 1-line block ×3, first 2 shown]
	v_fma_f64 v[58:59], v[58:59], v[24:25], v[90:91]
	v_fma_f64 v[60:61], v[60:61], v[24:25], -v[92:93]
	v_fma_f64 v[62:63], v[62:63], v[28:29], v[94:95]
	v_fma_f64 v[64:65], v[64:65], v[28:29], -v[96:97]
	ds_store_b128 v155, v[42:45] offset:4224
	ds_store_b128 v155, v[58:61] offset:4992
	;; [unrolled: 1-line block ×4, first 2 shown]
	s_and_saveexec_b32 s12, vcc_lo
	s_cbranch_execz .LBB0_3
; %bb.2:
	v_add_co_u32 v36, s2, v32, s2
	s_delay_alu instid0(VALU_DEP_1) | instskip(NEXT) | instid1(VALU_DEP_2)
	v_add_co_ci_u32_e64 v37, s2, s3, v33, s2
	v_add_co_u32 v40, s2, v36, s10
	s_delay_alu instid0(VALU_DEP_1) | instskip(SKIP_2) | instid1(VALU_DEP_1)
	v_add_co_ci_u32_e64 v41, s2, s11, v37, s2
	global_load_b128 v[32:35], v[36:37], off
	v_add_co_u32 v48, s2, v40, s10
	v_add_co_ci_u32_e64 v49, s2, s11, v41, s2
	global_load_b128 v[36:39], v[140:141], off offset:1536
	v_add_co_u32 v60, s2, v48, s10
	global_load_b128 v[40:43], v[40:41], off
	v_add_co_ci_u32_e64 v61, s2, s11, v49, s2
	global_load_b128 v[44:47], v[140:141], off offset:3648
	global_load_b128 v[48:51], v[48:49], off
	scratch_load_b64 v[0:1], off, off offset:12 ; 8-byte Folded Reload
	s_waitcnt vmcnt(0)
	s_clause 0x1
	global_load_b128 v[52:55], v[0:1], off offset:1664
	global_load_b128 v[56:59], v[0:1], off offset:3776
	global_load_b128 v[60:63], v[60:61], off
	v_mul_f64 v[64:65], v[34:35], v[38:39]
	v_mul_f64 v[38:39], v[32:33], v[38:39]
	;; [unrolled: 1-line block ×4, first 2 shown]
	s_delay_alu instid0(VALU_DEP_4) | instskip(NEXT) | instid1(VALU_DEP_4)
	v_fma_f64 v[32:33], v[32:33], v[36:37], v[64:65]
	v_fma_f64 v[34:35], v[34:35], v[36:37], -v[38:39]
	s_delay_alu instid0(VALU_DEP_4) | instskip(NEXT) | instid1(VALU_DEP_4)
	v_fma_f64 v[36:37], v[40:41], v[44:45], v[66:67]
	v_fma_f64 v[38:39], v[42:43], v[44:45], -v[46:47]
	s_waitcnt vmcnt(2)
	v_mul_f64 v[68:69], v[50:51], v[54:55]
	v_mul_f64 v[54:55], v[48:49], v[54:55]
	s_waitcnt vmcnt(0)
	v_mul_f64 v[70:71], v[62:63], v[58:59]
	v_mul_f64 v[58:59], v[60:61], v[58:59]
	s_delay_alu instid0(VALU_DEP_4) | instskip(NEXT) | instid1(VALU_DEP_4)
	v_fma_f64 v[40:41], v[48:49], v[52:53], v[68:69]
	v_fma_f64 v[42:43], v[50:51], v[52:53], -v[54:55]
	s_delay_alu instid0(VALU_DEP_4) | instskip(NEXT) | instid1(VALU_DEP_4)
	v_fma_f64 v[44:45], v[60:61], v[56:57], v[70:71]
	v_fma_f64 v[46:47], v[62:63], v[56:57], -v[58:59]
	ds_store_b128 v155, v[32:35] offset:1536
	ds_store_b128 v155, v[36:39] offset:3648
	;; [unrolled: 1-line block ×4, first 2 shown]
.LBB0_3:
	s_or_b32 exec_lo, exec_lo, s12
	s_waitcnt lgkmcnt(0)
	s_waitcnt_vscnt null, 0x0
	s_barrier
	buffer_gl0_inv
	ds_load_b128 v[32:35], v155
	ds_load_b128 v[36:39], v155 offset:768
	ds_load_b128 v[44:47], v155 offset:2112
	;; [unrolled: 1-line block ×7, first 2 shown]
                                        ; implicit-def: $vgpr48_vgpr49
                                        ; implicit-def: $vgpr68_vgpr69
                                        ; implicit-def: $vgpr60_vgpr61
                                        ; implicit-def: $vgpr52_vgpr53
	s_and_saveexec_b32 s2, vcc_lo
	s_cbranch_execz .LBB0_5
; %bb.4:
	ds_load_b128 v[48:51], v155 offset:1536
	ds_load_b128 v[52:55], v155 offset:3648
	;; [unrolled: 1-line block ×4, first 2 shown]
.LBB0_5:
	s_or_b32 exec_lo, exec_lo, s2
	s_waitcnt lgkmcnt(3)
	v_add_f64 v[76:77], v[32:33], -v[76:77]
	v_add_f64 v[78:79], v[34:35], -v[78:79]
	s_waitcnt lgkmcnt(1)
	v_add_f64 v[72:73], v[44:45], -v[72:73]
	v_add_f64 v[74:75], v[46:47], -v[74:75]
	;; [unrolled: 1-line block ×4, first 2 shown]
	s_waitcnt lgkmcnt(0)
	v_add_f64 v[56:57], v[40:41], -v[56:57]
	v_add_f64 v[58:59], v[42:43], -v[58:59]
	;; [unrolled: 1-line block ×6, first 2 shown]
	v_add_co_u32 v101, null, v4, 48
	v_add_co_u32 v100, null, 0x60, v4
	v_lshlrev_b32_e32 v1, 6, v4
	s_delay_alu instid0(VALU_DEP_3) | instskip(NEXT) | instid1(VALU_DEP_3)
	v_lshlrev_b32_e32 v255, 6, v101
	v_lshlrev_b32_e32 v0, 6, v100
	s_barrier
	buffer_gl0_inv
	scratch_store_b32 off, v0, off offset:144 ; 4-byte Folded Spill
	v_fma_f64 v[32:33], v[32:33], 2.0, -v[76:77]
	v_fma_f64 v[34:35], v[34:35], 2.0, -v[78:79]
	;; [unrolled: 1-line block ×12, first 2 shown]
	v_add_f64 v[40:41], v[76:77], -v[74:75]
	v_add_f64 v[42:43], v[78:79], v[72:73]
	v_add_f64 v[44:45], v[80:81], -v[58:59]
	v_add_f64 v[46:47], v[82:83], v[56:57]
	v_add_f64 v[48:49], v[32:33], -v[60:61]
	v_add_f64 v[50:51], v[34:35], -v[62:63]
	;; [unrolled: 1-line block ×5, first 2 shown]
	v_add_f64 v[38:39], v[86:87], v[64:65]
	v_add_f64 v[52:53], v[92:93], -v[52:53]
	v_add_f64 v[54:55], v[94:95], -v[54:55]
	v_fma_f64 v[64:65], v[76:77], 2.0, -v[40:41]
	v_fma_f64 v[66:67], v[78:79], 2.0, -v[42:43]
	;; [unrolled: 1-line block ×6, first 2 shown]
	ds_store_b128 v1, v[48:51] offset:32
	ds_store_b128 v1, v[40:43] offset:48
	ds_store_b128 v1, v[72:75]
	v_fma_f64 v[56:57], v[84:85], 2.0, -v[36:37]
	v_fma_f64 v[58:59], v[86:87], 2.0, -v[38:39]
	;; [unrolled: 1-line block ×6, first 2 shown]
	v_lshlrev_b32_e32 v93, 2, v4
	v_lshlrev_b32_e32 v92, 2, v101
	scratch_store_b32 off, v1, off offset:116 ; 4-byte Folded Spill
	ds_store_b128 v1, v[64:67] offset:16
	ds_store_b128 v255, v[76:79]
	ds_store_b128 v255, v[68:71] offset:16
	ds_store_b128 v255, v[60:63] offset:32
	;; [unrolled: 1-line block ×3, first 2 shown]
	s_and_saveexec_b32 s2, vcc_lo
	s_cbranch_execz .LBB0_7
; %bb.6:
	v_lshlrev_b32_e32 v0, 6, v100
	ds_store_b128 v0, v[32:35]
	ds_store_b128 v0, v[56:59] offset:16
	ds_store_b128 v0, v[52:55] offset:32
	;; [unrolled: 1-line block ×3, first 2 shown]
.LBB0_7:
	s_or_b32 exec_lo, exec_lo, s2
	s_waitcnt lgkmcnt(0)
	s_waitcnt_vscnt null, 0x0
	s_barrier
	buffer_gl0_inv
	ds_load_b128 v[60:63], v155
	ds_load_b128 v[64:67], v155 offset:768
	ds_load_b128 v[80:83], v155 offset:2112
	;; [unrolled: 1-line block ×7, first 2 shown]
	s_load_b64 s[2:3], s[0:1], 0x8
	s_and_saveexec_b32 s0, vcc_lo
	s_cbranch_execz .LBB0_9
; %bb.8:
	ds_load_b128 v[32:35], v155 offset:1536
	ds_load_b128 v[56:59], v155 offset:3648
	;; [unrolled: 1-line block ×4, first 2 shown]
.LBB0_9:
	s_or_b32 exec_lo, exec_lo, s0
	v_and_b32_e32 v1, 3, v4
	v_lshlrev_b32_e32 v2, 2, v100
	s_waitcnt lgkmcnt(0)
	s_delay_alu instid0(VALU_DEP_2)
	v_mad_u64_u32 v[40:41], null, v1, 48, s[2:3]
	v_and_or_b32 v0, 0xf0, v93, v1
	s_clause 0x2
	global_load_b128 v[48:51], v[40:41], off
	global_load_b128 v[44:47], v[40:41], off offset:16
	global_load_b128 v[40:43], v[40:41], off offset:32
	s_clause 0x1
	scratch_store_b32 off, v1, off offset:136
	scratch_store_b32 off, v2, off offset:148
	v_and_or_b32 v1, 0x1f0, v92, v1
	v_lshlrev_b32_e32 v144, 4, v0
	s_waitcnt vmcnt(0)
	s_waitcnt_vscnt null, 0x0
	s_barrier
	buffer_gl0_inv
	v_lshlrev_b32_e32 v156, 4, v1
	v_mul_f64 v[94:95], v[82:83], v[50:51]
	v_mul_f64 v[96:97], v[80:81], v[50:51]
	;; [unrolled: 1-line block ×16, first 2 shown]
	v_fma_f64 v[80:81], v[80:81], v[48:49], -v[94:95]
	v_fma_f64 v[82:83], v[82:83], v[48:49], v[96:97]
	v_fma_f64 v[84:85], v[84:85], v[44:45], -v[98:99]
	v_fma_f64 v[86:87], v[86:87], v[44:45], v[102:103]
	;; [unrolled: 2-line block ×3, first 2 shown]
	v_mul_f64 v[94:95], v[38:39], v[42:43]
	v_mul_f64 v[96:97], v[36:37], v[42:43]
	v_fma_f64 v[68:69], v[68:69], v[48:49], -v[108:109]
	v_fma_f64 v[70:71], v[70:71], v[48:49], v[110:111]
	v_fma_f64 v[72:73], v[72:73], v[44:45], -v[112:113]
	v_fma_f64 v[74:75], v[74:75], v[44:45], v[114:115]
	;; [unrolled: 2-line block ×5, first 2 shown]
	v_add_f64 v[84:85], v[60:61], -v[84:85]
	v_add_f64 v[86:87], v[62:63], -v[86:87]
	;; [unrolled: 1-line block ×4, first 2 shown]
	v_fma_f64 v[36:37], v[36:37], v[40:41], -v[94:95]
	v_fma_f64 v[38:39], v[38:39], v[40:41], v[96:97]
	v_add_f64 v[72:73], v[64:65], -v[72:73]
	v_add_f64 v[74:75], v[66:67], -v[74:75]
	;; [unrolled: 1-line block ×6, first 2 shown]
	v_fma_f64 v[88:89], v[60:61], 2.0, -v[84:85]
	v_fma_f64 v[90:91], v[62:63], 2.0, -v[86:87]
	;; [unrolled: 1-line block ×4, first 2 shown]
	v_add_f64 v[80:81], v[98:99], -v[36:37]
	v_add_f64 v[82:83], v[102:103], -v[38:39]
	v_add_f64 v[36:37], v[84:85], -v[58:59]
	v_add_f64 v[38:39], v[86:87], v[56:57]
	v_fma_f64 v[94:95], v[64:65], 2.0, -v[72:73]
	v_fma_f64 v[96:97], v[66:67], 2.0, -v[74:75]
	;; [unrolled: 1-line block ×4, first 2 shown]
	v_add_f64 v[56:57], v[72:73], -v[78:79]
	v_add_f64 v[58:59], v[74:75], v[76:77]
	v_fma_f64 v[32:33], v[32:33], 2.0, -v[52:53]
	v_fma_f64 v[34:35], v[34:35], 2.0, -v[54:55]
	v_add_f64 v[64:65], v[88:89], -v[60:61]
	v_add_f64 v[66:67], v[90:91], -v[62:63]
	v_fma_f64 v[98:99], v[98:99], 2.0, -v[80:81]
	v_fma_f64 v[102:103], v[102:103], 2.0, -v[82:83]
	v_add_f64 v[60:61], v[52:53], -v[82:83]
	v_add_f64 v[62:63], v[54:55], v[80:81]
	v_fma_f64 v[76:77], v[84:85], 2.0, -v[36:37]
	v_fma_f64 v[78:79], v[86:87], 2.0, -v[38:39]
	v_add_f64 v[68:69], v[94:95], -v[68:69]
	v_add_f64 v[70:71], v[96:97], -v[70:71]
	v_fma_f64 v[80:81], v[72:73], 2.0, -v[56:57]
	v_fma_f64 v[82:83], v[74:75], 2.0, -v[58:59]
	v_fma_f64 v[84:85], v[88:89], 2.0, -v[64:65]
	v_fma_f64 v[86:87], v[90:91], 2.0, -v[66:67]
	v_add_f64 v[72:73], v[32:33], -v[98:99]
	v_add_f64 v[74:75], v[34:35], -v[102:103]
	v_fma_f64 v[52:53], v[52:53], 2.0, -v[60:61]
	v_fma_f64 v[54:55], v[54:55], 2.0, -v[62:63]
	;; [unrolled: 1-line block ×4, first 2 shown]
	ds_store_b128 v144, v[64:67] offset:128
	ds_store_b128 v144, v[36:39] offset:192
	ds_store_b128 v144, v[84:87]
	ds_store_b128 v144, v[76:79] offset:64
	ds_store_b128 v156, v[88:91]
	ds_store_b128 v156, v[80:83] offset:64
	ds_store_b128 v156, v[68:71] offset:128
	;; [unrolled: 1-line block ×3, first 2 shown]
	s_and_saveexec_b32 s0, vcc_lo
	s_cbranch_execz .LBB0_11
; %bb.10:
	v_fma_f64 v[34:35], v[34:35], 2.0, -v[74:75]
	v_fma_f64 v[32:33], v[32:33], 2.0, -v[72:73]
	v_and_b32_e32 v0, 3, v4
	v_lshlrev_b32_e32 v1, 2, v100
	s_delay_alu instid0(VALU_DEP_1) | instskip(NEXT) | instid1(VALU_DEP_1)
	v_and_or_b32 v0, 0x3f0, v1, v0
	v_lshlrev_b32_e32 v0, 4, v0
	ds_store_b128 v0, v[32:35]
	ds_store_b128 v0, v[52:55] offset:64
	ds_store_b128 v0, v[72:75] offset:128
	;; [unrolled: 1-line block ×3, first 2 shown]
.LBB0_11:
	s_or_b32 exec_lo, exec_lo, s0
	s_waitcnt lgkmcnt(0)
	s_barrier
	buffer_gl0_inv
	ds_load_b128 v[64:67], v155
	ds_load_b128 v[56:59], v155 offset:768
	ds_load_b128 v[84:87], v155 offset:5632
	;; [unrolled: 1-line block ×8, first 2 shown]
	v_cmp_gt_u16_e64 s0, 32, v4
	s_delay_alu instid0(VALU_DEP_1)
	s_and_saveexec_b32 s1, s0
	s_cbranch_execz .LBB0_13
; %bb.12:
	ds_load_b128 v[52:55], v155 offset:2304
	ds_load_b128 v[72:75], v155 offset:5120
	;; [unrolled: 1-line block ×3, first 2 shown]
.LBB0_13:
	s_or_b32 exec_lo, exec_lo, s1
	v_and_b32_e32 v5, 15, v4
	s_mov_b32 s10, 0xe8584caa
	s_mov_b32 s11, 0x3febb67a
	;; [unrolled: 1-line block ×4, first 2 shown]
	v_lshlrev_b32_e32 v0, 5, v5
	v_lshrrev_b32_e32 v1, 4, v101
	v_lshrrev_b32_e32 v2, 4, v100
	v_add_co_u32 v3, null, 0x90, v4
	s_clause 0x1
	global_load_b128 v[36:39], v0, s[2:3] offset:192
	global_load_b128 v[32:35], v0, s[2:3] offset:208
	v_lshrrev_b32_e32 v0, 4, v4
	v_mul_u32_u24_e32 v1, 48, v1
	v_mul_u32_u24_e32 v2, 48, v2
	v_lshrrev_b32_e32 v3, 4, v3
	s_delay_alu instid0(VALU_DEP_4) | instskip(NEXT) | instid1(VALU_DEP_4)
	v_mul_u32_u24_e32 v0, 48, v0
	v_or_b32_e32 v1, v1, v5
	s_delay_alu instid0(VALU_DEP_4)
	v_or_b32_e32 v2, v2, v5
	scratch_store_b32 off, v3, off offset:120 ; 4-byte Folded Spill
	s_waitcnt vmcnt(0) lgkmcnt(0)
	s_waitcnt_vscnt null, 0x0
	v_or_b32_e32 v0, v0, v5
	v_lshlrev_b32_e32 v1, 4, v1
	scratch_store_b32 off, v5, off offset:140 ; 4-byte Folded Spill
	s_waitcnt_vscnt null, 0x0
	s_barrier
	buffer_gl0_inv
	v_lshlrev_b32_e32 v3, 4, v0
	v_lshlrev_b32_e32 v0, 4, v2
	v_mul_f64 v[102:103], v[98:99], v[38:39]
	v_mul_f64 v[104:105], v[96:97], v[38:39]
	;; [unrolled: 1-line block ×16, first 2 shown]
	v_fma_f64 v[96:97], v[96:97], v[36:37], -v[102:103]
	v_fma_f64 v[98:99], v[98:99], v[36:37], v[104:105]
	v_fma_f64 v[84:85], v[84:85], v[32:33], -v[106:107]
	v_fma_f64 v[86:87], v[86:87], v[32:33], v[108:109]
	;; [unrolled: 2-line block ×8, first 2 shown]
	v_add_f64 v[118:119], v[64:65], v[96:97]
	v_add_f64 v[102:103], v[96:97], v[84:85]
	;; [unrolled: 1-line block ×3, first 2 shown]
	v_add_f64 v[120:121], v[98:99], -v[86:87]
	v_add_f64 v[98:99], v[66:67], v[98:99]
	v_add_f64 v[106:107], v[92:93], v[76:77]
	;; [unrolled: 1-line block ×3, first 2 shown]
	v_add_f64 v[96:97], v[96:97], -v[84:85]
	v_add_f64 v[122:123], v[56:57], v[92:93]
	v_add_f64 v[110:111], v[88:89], v[80:81]
	;; [unrolled: 1-line block ×4, first 2 shown]
	v_add_f64 v[94:95], v[94:95], -v[78:79]
	v_add_f64 v[114:115], v[72:73], v[60:61]
	v_add_f64 v[116:117], v[74:75], v[62:63]
	v_add_f64 v[92:93], v[92:93], -v[76:77]
	v_add_f64 v[130:131], v[90:91], -v[82:83]
	;; [unrolled: 1-line block ×3, first 2 shown]
	v_add_f64 v[126:127], v[68:69], v[88:89]
	v_add_f64 v[128:129], v[70:71], v[90:91]
	v_fma_f64 v[102:103], v[102:103], -0.5, v[64:65]
	v_fma_f64 v[104:105], v[104:105], -0.5, v[66:67]
	v_add_f64 v[66:67], v[72:73], -v[60:61]
	v_fma_f64 v[106:107], v[106:107], -0.5, v[56:57]
	v_fma_f64 v[108:109], v[108:109], -0.5, v[58:59]
	v_add_f64 v[58:59], v[74:75], -v[62:63]
	v_add_f64 v[76:77], v[122:123], v[76:77]
	v_fma_f64 v[110:111], v[110:111], -0.5, v[68:69]
	v_fma_f64 v[112:113], v[112:113], -0.5, v[70:71]
	v_add_f64 v[68:69], v[118:119], v[84:85]
	v_add_f64 v[70:71], v[98:99], v[86:87]
	v_fma_f64 v[56:57], v[114:115], -0.5, v[52:53]
	v_fma_f64 v[64:65], v[116:117], -0.5, v[54:55]
	v_add_f64 v[78:79], v[124:125], v[78:79]
	v_add_f64 v[80:81], v[126:127], v[80:81]
	;; [unrolled: 1-line block ×3, first 2 shown]
	v_fma_f64 v[84:85], v[120:121], s[10:11], v[102:103]
	v_fma_f64 v[88:89], v[120:121], s[12:13], v[102:103]
	;; [unrolled: 1-line block ×14, first 2 shown]
	ds_store_b128 v3, v[68:71]
	ds_store_b128 v3, v[84:87] offset:256
	scratch_store_b32 off, v3, off offset:132 ; 4-byte Folded Spill
	ds_store_b128 v3, v[88:91] offset:512
	ds_store_b128 v1, v[76:79]
	ds_store_b128 v1, v[96:99] offset:256
	scratch_store_b32 off, v1, off offset:128 ; 4-byte Folded Spill
	ds_store_b128 v1, v[102:105] offset:512
	;; [unrolled: 4-line block ×3, first 2 shown]
	s_and_saveexec_b32 s1, s0
	s_cbranch_execz .LBB0_15
; %bb.14:
	scratch_load_b32 v0, off, off offset:120 ; 4-byte Folded Reload
	v_add_f64 v[68:69], v[54:55], v[74:75]
	v_add_f64 v[52:53], v[52:53], v[72:73]
	v_mul_f64 v[66:67], v[66:67], s[10:11]
	v_mul_f64 v[58:59], v[58:59], s[10:11]
	v_and_b32_e32 v1, 15, v4
	v_add_f64 v[62:63], v[68:69], v[62:63]
	v_add_f64 v[60:61], v[52:53], v[60:61]
	v_add_f64 v[54:55], v[64:65], -v[66:67]
	v_add_f64 v[52:53], v[58:59], v[56:57]
	s_waitcnt vmcnt(0)
	v_mul_u32_u24_e32 v0, 48, v0
	s_delay_alu instid0(VALU_DEP_1) | instskip(NEXT) | instid1(VALU_DEP_1)
	v_or_b32_e32 v0, v0, v1
	v_lshlrev_b32_e32 v0, 4, v0
	ds_store_b128 v0, v[60:63]
	ds_store_b128 v0, v[52:55] offset:256
	ds_store_b128 v0, v[92:95] offset:512
.LBB0_15:
	s_or_b32 exec_lo, exec_lo, s1
	v_mad_u64_u32 v[84:85], null, 0xa0, v4, s[2:3]
	scratch_store_b32 off, v4, off offset:8 ; 4-byte Folded Spill
	s_waitcnt lgkmcnt(0)
	s_waitcnt_vscnt null, 0x0
	s_barrier
	buffer_gl0_inv
	s_mov_b32 s25, 0xbfed1bb4
	s_mov_b32 s24, 0x8eee2c13
	s_clause 0x3
	global_load_b128 v[56:59], v[84:85], off offset:704
	global_load_b128 v[52:55], v[84:85], off offset:848
	;; [unrolled: 1-line block ×4, first 2 shown]
	ds_load_b128 v[68:71], v155 offset:768
	ds_load_b128 v[72:75], v155 offset:7680
	ds_load_b128 v[96:99], v155
	s_mov_b32 s12, 0xd9c712b6
	s_mov_b32 s20, 0x43842ef
	;; [unrolled: 1-line block ×24, first 2 shown]
	s_waitcnt vmcnt(3) lgkmcnt(2)
	v_mul_f64 v[76:77], v[70:71], v[58:59]
	v_mul_f64 v[78:79], v[68:69], v[58:59]
	s_waitcnt vmcnt(2) lgkmcnt(1)
	v_mul_f64 v[82:83], v[74:75], v[54:55]
	v_mul_f64 v[80:81], v[72:73], v[54:55]
	s_delay_alu instid0(VALU_DEP_4) | instskip(NEXT) | instid1(VALU_DEP_4)
	v_fma_f64 v[149:150], v[68:69], v[56:57], -v[76:77]
	v_fma_f64 v[151:152], v[70:71], v[56:57], v[78:79]
	ds_load_b128 v[68:71], v155 offset:1536
	ds_load_b128 v[76:79], v155 offset:2304
	v_fma_f64 v[106:107], v[72:73], v[52:53], -v[82:83]
	v_fma_f64 v[104:105], v[74:75], v[52:53], v[80:81]
	s_waitcnt vmcnt(1) lgkmcnt(1)
	v_mul_f64 v[72:73], v[70:71], v[62:63]
	s_delay_alu instid0(VALU_DEP_3) | instskip(NEXT) | instid1(VALU_DEP_3)
	v_add_f64 v[169:170], v[149:150], v[106:107]
	v_add_f64 v[189:190], v[151:152], v[104:105]
	s_delay_alu instid0(VALU_DEP_3) | instskip(SKIP_1) | instid1(VALU_DEP_1)
	v_fma_f64 v[112:113], v[68:69], v[60:61], -v[72:73]
	v_mul_f64 v[68:69], v[68:69], v[62:63]
	v_fma_f64 v[114:115], v[70:71], v[60:61], v[68:69]
	ds_load_b128 v[68:71], v155 offset:6912
	ds_load_b128 v[86:89], v155 offset:6144
	s_waitcnt vmcnt(0) lgkmcnt(1)
	v_mul_f64 v[72:73], v[68:69], v[66:67]
	s_delay_alu instid0(VALU_DEP_1) | instskip(SKIP_1) | instid1(VALU_DEP_2)
	v_fma_f64 v[108:109], v[70:71], v[64:65], v[72:73]
	v_mul_f64 v[70:71], v[70:71], v[66:67]
	v_add_f64 v[209:210], v[114:115], v[108:109]
	s_delay_alu instid0(VALU_DEP_2)
	v_fma_f64 v[110:111], v[68:69], v[64:65], -v[70:71]
	s_clause 0x1
	global_load_b128 v[72:75], v[84:85], off offset:736
	global_load_b128 v[68:71], v[84:85], off offset:752
	s_waitcnt vmcnt(1)
	v_mul_f64 v[80:81], v[78:79], v[74:75]
	s_delay_alu instid0(VALU_DEP_1) | instskip(SKIP_1) | instid1(VALU_DEP_1)
	v_fma_f64 v[120:121], v[76:77], v[72:73], -v[80:81]
	v_mul_f64 v[76:77], v[76:77], v[74:75]
	v_fma_f64 v[122:123], v[78:79], v[72:73], v[76:77]
	s_clause 0x1
	global_load_b128 v[80:83], v[84:85], off offset:816
	global_load_b128 v[76:79], v[84:85], off offset:800
	s_waitcnt vmcnt(1) lgkmcnt(0)
	v_mul_f64 v[90:91], v[86:87], v[82:83]
	s_delay_alu instid0(VALU_DEP_1) | instskip(SKIP_1) | instid1(VALU_DEP_2)
	v_fma_f64 v[116:117], v[88:89], v[80:81], v[90:91]
	v_mul_f64 v[88:89], v[88:89], v[82:83]
	v_add_f64 v[213:214], v[122:123], -v[116:117]
	s_delay_alu instid0(VALU_DEP_2)
	v_fma_f64 v[118:119], v[86:87], v[80:81], -v[88:89]
	ds_load_b128 v[86:89], v155 offset:3072
	ds_load_b128 v[100:103], v155 offset:3840
	v_add_f64 v[221:222], v[122:123], v[116:117]
	s_waitcnt lgkmcnt(1)
	v_mul_f64 v[90:91], v[88:89], v[70:71]
	v_mul_f64 v[217:218], v[213:214], s[28:29]
	v_add_f64 v[215:216], v[120:121], v[118:119]
	v_add_f64 v[219:220], v[120:121], -v[118:119]
	v_mul_f64 v[0:1], v[213:214], s[26:27]
	v_fma_f64 v[124:125], v[86:87], v[68:69], -v[90:91]
	v_mul_f64 v[86:87], v[86:87], v[70:71]
	s_delay_alu instid0(VALU_DEP_4) | instskip(NEXT) | instid1(VALU_DEP_4)
	v_mul_f64 v[223:224], v[219:220], s[28:29]
	v_fma_f64 v[2:3], v[215:216], s[22:23], -v[0:1]
	v_mul_f64 v[4:5], v[219:220], s[26:27]
	v_fma_f64 v[0:1], v[215:216], s[22:23], v[0:1]
	v_fma_f64 v[126:127], v[88:89], v[68:69], v[86:87]
	s_clause 0x1
	global_load_b128 v[88:91], v[84:85], off offset:768
	global_load_b128 v[84:87], v[84:85], off offset:784
	v_fma_f64 v[6:7], v[221:222], s[22:23], v[4:5]
	v_fma_f64 v[4:5], v[221:222], s[22:23], -v[4:5]
	s_waitcnt vmcnt(1) lgkmcnt(0)
	v_mul_f64 v[128:129], v[102:103], v[90:91]
	s_delay_alu instid0(VALU_DEP_1) | instskip(SKIP_1) | instid1(VALU_DEP_1)
	v_fma_f64 v[128:129], v[100:101], v[88:89], -v[128:129]
	v_mul_f64 v[100:101], v[100:101], v[90:91]
	v_fma_f64 v[130:131], v[102:103], v[88:89], v[100:101]
	ds_load_b128 v[100:103], v155 offset:4608
	ds_load_b128 v[145:148], v155 offset:5376
	s_waitcnt vmcnt(0) lgkmcnt(1)
	v_mul_f64 v[132:133], v[102:103], v[86:87]
	s_delay_alu instid0(VALU_DEP_1) | instskip(SKIP_1) | instid1(VALU_DEP_2)
	v_fma_f64 v[132:133], v[100:101], v[84:85], -v[132:133]
	v_mul_f64 v[100:101], v[100:101], v[86:87]
	v_add_f64 v[239:240], v[128:129], v[132:133]
	s_delay_alu instid0(VALU_DEP_2) | instskip(SKIP_3) | instid1(VALU_DEP_3)
	v_fma_f64 v[134:135], v[102:103], v[84:85], v[100:101]
	s_waitcnt lgkmcnt(0)
	v_mul_f64 v[100:101], v[147:148], v[78:79]
	v_add_f64 v[243:244], v[128:129], -v[132:133]
	v_add_f64 v[237:238], v[130:131], -v[134:135]
	s_delay_alu instid0(VALU_DEP_3)
	v_fma_f64 v[136:137], v[145:146], v[76:77], -v[100:101]
	v_mul_f64 v[100:101], v[145:146], v[78:79]
	v_add_f64 v[245:246], v[130:131], v[134:135]
	v_mul_f64 v[163:164], v[243:244], s[18:19]
	v_mul_f64 v[241:242], v[237:238], s[34:35]
	v_add_f64 v[227:228], v[124:125], v[136:137]
	v_fma_f64 v[138:139], v[147:148], v[76:77], v[100:101]
	v_add_f64 v[100:101], v[151:152], -v[104:105]
	v_add_f64 v[231:232], v[124:125], -v[136:137]
	v_mul_f64 v[161:162], v[237:238], s[18:19]
	v_mul_f64 v[20:21], v[237:238], s[20:21]
	v_add_f64 v[225:226], v[126:127], -v[138:139]
	v_mul_f64 v[145:146], v[100:101], s[24:25]
	v_mul_f64 v[147:148], v[100:101], s[20:21]
	;; [unrolled: 1-line block ×5, first 2 shown]
	v_add_f64 v[233:234], v[126:127], v[138:139]
	v_mul_f64 v[235:236], v[231:232], s[30:31]
	v_mul_f64 v[159:160], v[231:232], s[26:27]
	v_fma_f64 v[22:23], v[239:240], s[14:15], -v[20:21]
	v_mul_f64 v[229:230], v[225:226], s[30:31]
	v_fma_f64 v[173:174], v[169:170], s[12:13], -v[145:146]
	v_fma_f64 v[175:176], v[169:170], s[12:13], v[145:146]
	v_add_f64 v[145:146], v[149:150], -v[106:107]
	v_fma_f64 v[177:178], v[169:170], s[14:15], -v[147:148]
	v_fma_f64 v[179:180], v[169:170], s[14:15], v[147:148]
	v_fma_f64 v[171:172], v[169:170], s[22:23], -v[102:103]
	v_fma_f64 v[102:103], v[169:170], s[22:23], v[102:103]
	;; [unrolled: 2-line block ×4, first 2 shown]
	v_mul_f64 v[167:168], v[225:226], s[26:27]
	v_mul_f64 v[8:9], v[225:226], s[16:17]
	;; [unrolled: 1-line block ×7, first 2 shown]
	v_add_f64 v[203:204], v[96:97], v[171:172]
	v_fma_f64 v[10:11], v[227:228], s[2:3], -v[8:9]
	v_fma_f64 v[191:192], v[189:190], s[22:23], v[147:148]
	v_fma_f64 v[193:194], v[189:190], s[22:23], -v[147:148]
	v_fma_f64 v[197:198], v[189:190], s[14:15], v[185:186]
	v_fma_f64 v[195:196], v[189:190], s[12:13], v[169:170]
	v_fma_f64 v[169:170], v[189:190], s[12:13], -v[169:170]
	v_fma_f64 v[185:186], v[189:190], s[14:15], -v[185:186]
	v_fma_f64 v[199:200], v[189:190], s[10:11], v[187:188]
	v_fma_f64 v[187:188], v[189:190], s[10:11], -v[187:188]
	v_fma_f64 v[201:202], v[189:190], s[2:3], v[145:146]
	v_fma_f64 v[189:190], v[189:190], s[2:3], -v[145:146]
	v_add_f64 v[145:146], v[96:97], v[149:150]
	v_add_f64 v[147:148], v[98:99], v[151:152]
	;; [unrolled: 1-line block ×14, first 2 shown]
	v_add_f64 v[100:101], v[114:115], -v[108:109]
	v_add_f64 v[207:208], v[98:99], v[185:186]
	v_add_f64 v[183:184], v[98:99], v[201:202]
	;; [unrolled: 1-line block ×3, first 2 shown]
	v_add_f64 v[185:186], v[112:113], -v[110:111]
	v_add_f64 v[171:172], v[98:99], v[195:196]
	v_add_f64 v[195:196], v[98:99], v[169:170]
	;; [unrolled: 1-line block ×5, first 2 shown]
	v_mul_f64 v[201:202], v[100:101], s[18:19]
	v_mul_f64 v[247:248], v[100:101], s[28:29]
	;; [unrolled: 1-line block ×7, first 2 shown]
	s_mov_b32 s25, 0x3fed1bb4
	v_mul_f64 v[142:143], v[185:186], s[30:31]
	v_mul_f64 v[157:158], v[213:214], s[24:25]
	;; [unrolled: 1-line block ×5, first 2 shown]
	v_fma_f64 v[169:170], v[153:154], s[10:11], -v[201:202]
	s_delay_alu instid0(VALU_DEP_3) | instskip(NEXT) | instid1(VALU_DEP_3)
	v_fma_f64 v[14:15], v[239:240], s[12:13], -v[12:13]
	v_fma_f64 v[18:19], v[227:228], s[12:13], -v[16:17]
	v_fma_f64 v[16:17], v[227:228], s[12:13], v[16:17]
	s_delay_alu instid0(VALU_DEP_4) | instskip(SKIP_1) | instid1(VALU_DEP_1)
	v_add_f64 v[102:103], v[169:170], v[102:103]
	v_fma_f64 v[169:170], v[209:210], s[10:11], v[211:212]
	v_add_f64 v[169:170], v[169:170], v[171:172]
	v_fma_f64 v[171:172], v[215:216], s[2:3], -v[217:218]
	s_delay_alu instid0(VALU_DEP_1) | instskip(SKIP_1) | instid1(VALU_DEP_1)
	v_add_f64 v[102:103], v[171:172], v[102:103]
	v_fma_f64 v[171:172], v[221:222], s[2:3], v[223:224]
	v_add_f64 v[169:170], v[171:172], v[169:170]
	v_fma_f64 v[171:172], v[227:228], s[14:15], -v[229:230]
	s_delay_alu instid0(VALU_DEP_1) | instskip(SKIP_1) | instid1(VALU_DEP_1)
	;; [unrolled: 5-line block ×3, first 2 shown]
	v_add_f64 v[169:170], v[169:170], v[102:103]
	v_mul_f64 v[102:103], v[243:244], s[34:35]
	v_fma_f64 v[187:188], v[245:246], s[22:23], v[102:103]
	s_delay_alu instid0(VALU_DEP_1) | instskip(SKIP_1) | instid1(VALU_DEP_1)
	v_add_f64 v[171:172], v[187:188], v[171:172]
	v_fma_f64 v[187:188], v[153:154], s[2:3], -v[247:248]
	v_add_f64 v[173:174], v[187:188], v[173:174]
	v_fma_f64 v[187:188], v[209:210], s[2:3], v[249:250]
	s_delay_alu instid0(VALU_DEP_1) | instskip(SKIP_1) | instid1(VALU_DEP_1)
	v_add_f64 v[175:176], v[187:188], v[175:176]
	v_fma_f64 v[187:188], v[215:216], s[12:13], -v[157:158]
	v_add_f64 v[173:174], v[187:188], v[173:174]
	;; [unrolled: 5-line block ×5, first 2 shown]
	v_fma_f64 v[187:188], v[209:210], s[14:15], v[142:143]
	s_delay_alu instid0(VALU_DEP_2) | instskip(NEXT) | instid1(VALU_DEP_2)
	v_add_f64 v[2:3], v[2:3], v[177:178]
	v_add_f64 v[179:180], v[187:188], v[179:180]
	v_mul_f64 v[187:188], v[219:220], s[18:19]
	s_delay_alu instid0(VALU_DEP_3) | instskip(SKIP_1) | instid1(VALU_DEP_4)
	v_add_f64 v[2:3], v[10:11], v[2:3]
	v_mul_f64 v[10:11], v[231:232], s[16:17]
	v_add_f64 v[6:7], v[6:7], v[179:180]
	s_delay_alu instid0(VALU_DEP_2) | instskip(NEXT) | instid1(VALU_DEP_1)
	v_fma_f64 v[177:178], v[233:234], s[2:3], v[10:11]
	v_add_f64 v[6:7], v[177:178], v[6:7]
	v_add_f64 v[177:178], v[14:15], v[2:3]
	v_mul_f64 v[2:3], v[243:244], s[24:25]
	s_delay_alu instid0(VALU_DEP_1) | instskip(SKIP_1) | instid1(VALU_DEP_2)
	v_fma_f64 v[14:15], v[245:246], s[12:13], v[2:3]
	v_fma_f64 v[2:3], v[245:246], s[12:13], -v[2:3]
	v_add_f64 v[179:180], v[14:15], v[6:7]
	v_mul_f64 v[6:7], v[100:101], s[34:35]
	v_mul_f64 v[100:101], v[185:186], s[34:35]
	;; [unrolled: 1-line block ×3, first 2 shown]
	s_delay_alu instid0(VALU_DEP_3) | instskip(SKIP_1) | instid1(VALU_DEP_2)
	v_fma_f64 v[14:15], v[153:154], s[22:23], -v[6:7]
	v_fma_f64 v[6:7], v[153:154], s[22:23], v[6:7]
	v_add_f64 v[14:15], v[14:15], v[181:182]
	v_fma_f64 v[181:182], v[209:210], s[22:23], v[100:101]
	s_delay_alu instid0(VALU_DEP_3) | instskip(SKIP_1) | instid1(VALU_DEP_3)
	v_add_f64 v[6:7], v[6:7], v[96:97]
	v_fma_f64 v[96:97], v[215:216], s[10:11], v[185:186]
	v_add_f64 v[181:182], v[181:182], v[183:184]
	v_fma_f64 v[183:184], v[215:216], s[10:11], -v[185:186]
	s_delay_alu instid0(VALU_DEP_3) | instskip(SKIP_1) | instid1(VALU_DEP_3)
	v_add_f64 v[6:7], v[96:97], v[6:7]
	v_fma_f64 v[96:97], v[221:222], s[10:11], -v[187:188]
	v_add_f64 v[14:15], v[183:184], v[14:15]
	v_fma_f64 v[183:184], v[221:222], s[10:11], v[187:188]
	s_delay_alu instid0(VALU_DEP_4) | instskip(NEXT) | instid1(VALU_DEP_3)
	v_add_f64 v[6:7], v[16:17], v[6:7]
	v_add_f64 v[14:15], v[18:19], v[14:15]
	v_mul_f64 v[18:19], v[231:232], s[24:25]
	s_delay_alu instid0(VALU_DEP_4) | instskip(NEXT) | instid1(VALU_DEP_2)
	v_add_f64 v[181:182], v[183:184], v[181:182]
	v_fma_f64 v[183:184], v[233:234], s[12:13], v[18:19]
	v_fma_f64 v[16:17], v[233:234], s[12:13], -v[18:19]
	v_fma_f64 v[18:19], v[239:240], s[14:15], v[20:21]
	s_delay_alu instid0(VALU_DEP_3) | instskip(SKIP_2) | instid1(VALU_DEP_4)
	v_add_f64 v[183:184], v[183:184], v[181:182]
	v_add_f64 v[181:182], v[22:23], v[14:15]
	v_mul_f64 v[14:15], v[243:244], s[20:21]
	v_add_f64 v[185:186], v[18:19], v[6:7]
	v_fma_f64 v[6:7], v[153:154], s[14:15], v[189:190]
	s_delay_alu instid0(VALU_DEP_3) | instskip(SKIP_1) | instid1(VALU_DEP_3)
	v_fma_f64 v[22:23], v[245:246], s[14:15], v[14:15]
	v_fma_f64 v[14:15], v[245:246], s[14:15], -v[14:15]
	v_add_f64 v[6:7], v[6:7], v[191:192]
	s_delay_alu instid0(VALU_DEP_3) | instskip(SKIP_1) | instid1(VALU_DEP_3)
	v_add_f64 v[183:184], v[22:23], v[183:184]
	v_fma_f64 v[22:23], v[209:210], s[22:23], -v[100:101]
	v_add_f64 v[0:1], v[0:1], v[6:7]
	v_fma_f64 v[6:7], v[227:228], s[2:3], v[8:9]
	s_delay_alu instid0(VALU_DEP_3) | instskip(NEXT) | instid1(VALU_DEP_2)
	v_add_f64 v[22:23], v[22:23], v[98:99]
	v_add_f64 v[0:1], v[6:7], v[0:1]
	v_fma_f64 v[6:7], v[233:234], s[2:3], -v[10:11]
	s_delay_alu instid0(VALU_DEP_3) | instskip(NEXT) | instid1(VALU_DEP_1)
	v_add_f64 v[22:23], v[96:97], v[22:23]
	v_add_f64 v[16:17], v[16:17], v[22:23]
	s_delay_alu instid0(VALU_DEP_1) | instskip(SKIP_1) | instid1(VALU_DEP_1)
	v_add_f64 v[187:188], v[14:15], v[16:17]
	v_fma_f64 v[14:15], v[209:210], s[14:15], -v[142:143]
	v_add_f64 v[14:15], v[14:15], v[199:200]
	s_delay_alu instid0(VALU_DEP_1) | instskip(SKIP_1) | instid1(VALU_DEP_2)
	v_add_f64 v[4:5], v[4:5], v[14:15]
	v_mul_f64 v[14:15], v[243:244], s[16:17]
	v_add_f64 v[4:5], v[6:7], v[4:5]
	v_fma_f64 v[6:7], v[239:240], s[12:13], v[12:13]
	s_delay_alu instid0(VALU_DEP_2) | instskip(NEXT) | instid1(VALU_DEP_2)
	v_add_f64 v[191:192], v[2:3], v[4:5]
	v_add_f64 v[189:190], v[6:7], v[0:1]
	v_fma_f64 v[0:1], v[153:154], s[2:3], v[247:248]
	v_fma_f64 v[2:3], v[209:210], s[2:3], -v[249:250]
	v_fma_f64 v[4:5], v[215:216], s[12:13], v[157:158]
	v_fma_f64 v[6:7], v[245:246], s[10:11], -v[163:164]
	s_delay_alu instid0(VALU_DEP_4) | instskip(NEXT) | instid1(VALU_DEP_4)
	v_add_f64 v[0:1], v[0:1], v[197:198]
	v_add_f64 v[2:3], v[2:3], v[207:208]
	s_delay_alu instid0(VALU_DEP_2) | instskip(SKIP_1) | instid1(VALU_DEP_1)
	v_add_f64 v[0:1], v[4:5], v[0:1]
	v_fma_f64 v[4:5], v[221:222], s[12:13], -v[165:166]
	v_add_f64 v[2:3], v[4:5], v[2:3]
	v_fma_f64 v[4:5], v[227:228], s[22:23], v[167:168]
	s_delay_alu instid0(VALU_DEP_1) | instskip(SKIP_1) | instid1(VALU_DEP_1)
	v_add_f64 v[0:1], v[4:5], v[0:1]
	v_fma_f64 v[4:5], v[233:234], s[22:23], -v[159:160]
	v_add_f64 v[2:3], v[4:5], v[2:3]
	v_fma_f64 v[4:5], v[239:240], s[10:11], v[161:162]
	s_delay_alu instid0(VALU_DEP_2) | instskip(NEXT) | instid1(VALU_DEP_2)
	v_add_f64 v[98:99], v[6:7], v[2:3]
	v_add_f64 v[96:97], v[4:5], v[0:1]
	v_fma_f64 v[0:1], v[153:154], s[10:11], v[201:202]
	v_fma_f64 v[2:3], v[209:210], s[10:11], -v[211:212]
	v_fma_f64 v[4:5], v[215:216], s[2:3], v[217:218]
	v_fma_f64 v[6:7], v[245:246], s[22:23], -v[102:103]
	s_delay_alu instid0(VALU_DEP_4) | instskip(NEXT) | instid1(VALU_DEP_4)
	v_add_f64 v[0:1], v[0:1], v[193:194]
	v_add_f64 v[2:3], v[2:3], v[195:196]
	s_delay_alu instid0(VALU_DEP_2) | instskip(SKIP_1) | instid1(VALU_DEP_1)
	v_add_f64 v[0:1], v[4:5], v[0:1]
	v_fma_f64 v[4:5], v[221:222], s[2:3], -v[223:224]
	v_add_f64 v[2:3], v[4:5], v[2:3]
	v_fma_f64 v[4:5], v[227:228], s[14:15], v[229:230]
	s_delay_alu instid0(VALU_DEP_1) | instskip(SKIP_1) | instid1(VALU_DEP_1)
	v_add_f64 v[0:1], v[4:5], v[0:1]
	v_fma_f64 v[4:5], v[233:234], s[14:15], -v[235:236]
	v_add_f64 v[2:3], v[4:5], v[2:3]
	v_fma_f64 v[4:5], v[239:240], s[22:23], v[241:242]
	s_delay_alu instid0(VALU_DEP_2) | instskip(NEXT) | instid1(VALU_DEP_2)
	v_add_f64 v[102:103], v[6:7], v[2:3]
	v_add_f64 v[100:101], v[4:5], v[0:1]
	v_fma_f64 v[0:1], v[153:154], s[12:13], -v[251:252]
	v_mul_f64 v[4:5], v[213:214], s[20:21]
	v_fma_f64 v[2:3], v[209:210], s[12:13], v[253:254]
	s_delay_alu instid0(VALU_DEP_3) | instskip(NEXT) | instid1(VALU_DEP_3)
	v_add_f64 v[0:1], v[0:1], v[203:204]
	v_fma_f64 v[6:7], v[215:216], s[14:15], -v[4:5]
	s_delay_alu instid0(VALU_DEP_3) | instskip(SKIP_1) | instid1(VALU_DEP_3)
	v_add_f64 v[2:3], v[2:3], v[205:206]
	v_fma_f64 v[4:5], v[215:216], s[14:15], v[4:5]
	v_add_f64 v[0:1], v[6:7], v[0:1]
	v_mul_f64 v[6:7], v[219:220], s[20:21]
	s_delay_alu instid0(VALU_DEP_1) | instskip(SKIP_1) | instid1(VALU_DEP_2)
	v_fma_f64 v[8:9], v[221:222], s[14:15], v[6:7]
	v_fma_f64 v[6:7], v[221:222], s[14:15], -v[6:7]
	v_add_f64 v[2:3], v[8:9], v[2:3]
	v_mul_f64 v[8:9], v[225:226], s[18:19]
	s_delay_alu instid0(VALU_DEP_1) | instskip(SKIP_1) | instid1(VALU_DEP_2)
	v_fma_f64 v[10:11], v[227:228], s[10:11], -v[8:9]
	v_fma_f64 v[8:9], v[227:228], s[10:11], v[8:9]
	v_add_f64 v[0:1], v[10:11], v[0:1]
	v_mul_f64 v[10:11], v[231:232], s[18:19]
	s_delay_alu instid0(VALU_DEP_1) | instskip(SKIP_1) | instid1(VALU_DEP_2)
	v_fma_f64 v[12:13], v[233:234], s[10:11], v[10:11]
	v_fma_f64 v[10:11], v[233:234], s[10:11], -v[10:11]
	v_add_f64 v[2:3], v[12:13], v[2:3]
	v_mul_f64 v[12:13], v[237:238], s[16:17]
	s_delay_alu instid0(VALU_DEP_1) | instskip(NEXT) | instid1(VALU_DEP_1)
	v_fma_f64 v[16:17], v[239:240], s[2:3], -v[12:13]
	v_add_f64 v[193:194], v[16:17], v[0:1]
	v_fma_f64 v[0:1], v[245:246], s[2:3], v[14:15]
	s_delay_alu instid0(VALU_DEP_1) | instskip(SKIP_2) | instid1(VALU_DEP_2)
	v_add_f64 v[195:196], v[0:1], v[2:3]
	v_add_f64 v[0:1], v[145:146], v[112:113]
	;; [unrolled: 1-line block ×4, first 2 shown]
	s_delay_alu instid0(VALU_DEP_2) | instskip(NEXT) | instid1(VALU_DEP_2)
	v_add_f64 v[2:3], v[2:3], v[122:123]
	v_add_f64 v[0:1], v[0:1], v[124:125]
	s_delay_alu instid0(VALU_DEP_2) | instskip(NEXT) | instid1(VALU_DEP_2)
	v_add_f64 v[2:3], v[2:3], v[126:127]
	v_add_f64 v[0:1], v[0:1], v[128:129]
	s_delay_alu instid0(VALU_DEP_2) | instskip(NEXT) | instid1(VALU_DEP_2)
	v_add_f64 v[2:3], v[2:3], v[130:131]
	v_add_f64 v[0:1], v[0:1], v[132:133]
	s_delay_alu instid0(VALU_DEP_2) | instskip(NEXT) | instid1(VALU_DEP_2)
	v_add_f64 v[2:3], v[2:3], v[134:135]
	v_add_f64 v[0:1], v[0:1], v[136:137]
	s_delay_alu instid0(VALU_DEP_2) | instskip(NEXT) | instid1(VALU_DEP_2)
	v_add_f64 v[2:3], v[2:3], v[138:139]
	v_add_f64 v[0:1], v[0:1], v[118:119]
	s_delay_alu instid0(VALU_DEP_2) | instskip(NEXT) | instid1(VALU_DEP_2)
	v_add_f64 v[2:3], v[2:3], v[116:117]
	v_add_f64 v[0:1], v[0:1], v[110:111]
	s_delay_alu instid0(VALU_DEP_2) | instskip(NEXT) | instid1(VALU_DEP_2)
	v_add_f64 v[2:3], v[2:3], v[108:109]
	v_add_f64 v[108:109], v[0:1], v[106:107]
	s_delay_alu instid0(VALU_DEP_2)
	v_add_f64 v[110:111], v[2:3], v[104:105]
	v_fma_f64 v[0:1], v[153:154], s[12:13], v[251:252]
	v_fma_f64 v[2:3], v[209:210], s[12:13], -v[253:254]
	ds_store_b128 v155, v[169:172] offset:1536
	ds_store_b128 v155, v[173:176] offset:2304
	;; [unrolled: 1-line block ×7, first 2 shown]
	ds_store_b128 v155, v[108:111]
	v_add_f64 v[0:1], v[0:1], v[149:150]
	v_add_f64 v[2:3], v[2:3], v[151:152]
	s_delay_alu instid0(VALU_DEP_2) | instskip(NEXT) | instid1(VALU_DEP_2)
	v_add_f64 v[0:1], v[4:5], v[0:1]
	v_add_f64 v[2:3], v[6:7], v[2:3]
	v_fma_f64 v[4:5], v[239:240], s[2:3], v[12:13]
	v_fma_f64 v[6:7], v[245:246], s[2:3], -v[14:15]
	s_delay_alu instid0(VALU_DEP_4) | instskip(NEXT) | instid1(VALU_DEP_4)
	v_add_f64 v[0:1], v[8:9], v[0:1]
	v_add_f64 v[2:3], v[10:11], v[2:3]
	s_delay_alu instid0(VALU_DEP_2) | instskip(NEXT) | instid1(VALU_DEP_2)
	v_add_f64 v[104:105], v[4:5], v[0:1]
	v_add_f64 v[106:107], v[6:7], v[2:3]
	v_add_co_u32 v0, s1, 0x2000, v140
	s_delay_alu instid0(VALU_DEP_1)
	v_add_co_ci_u32_e64 v1, s1, 0, v141, s1
	ds_store_b128 v155, v[96:99] offset:6144
	ds_store_b128 v155, v[100:103] offset:6912
	;; [unrolled: 1-line block ×3, first 2 shown]
	s_waitcnt lgkmcnt(0)
	s_barrier
	buffer_gl0_inv
	global_load_b128 v[110:113], v[0:1], off offset:256
	v_add_co_u32 v108, s1, 0x2100, v140
	s_delay_alu instid0(VALU_DEP_1)
	v_add_co_ci_u32_e64 v109, s1, 0, v141, s1
	ds_load_b128 v[114:117], v155
	ds_load_b128 v[118:121], v155 offset:768
	ds_load_b128 v[130:133], v155 offset:2112
	;; [unrolled: 1-line block ×3, first 2 shown]
	s_clause 0x1
	global_load_b128 v[126:129], v[108:109], off offset:2112
	global_load_b128 v[134:137], v[108:109], off offset:768
	ds_load_b128 v[169:172], v155 offset:4224
	ds_load_b128 v[177:180], v155 offset:4992
	global_load_b128 v[122:125], v[108:109], off offset:2880
	s_waitcnt vmcnt(3) lgkmcnt(5)
	v_mul_f64 v[0:1], v[116:117], v[112:113]
	v_mul_f64 v[2:3], v[114:115], v[112:113]
	s_delay_alu instid0(VALU_DEP_2) | instskip(SKIP_2) | instid1(VALU_DEP_3)
	v_fma_f64 v[112:113], v[114:115], v[110:111], -v[0:1]
	s_waitcnt vmcnt(2) lgkmcnt(3)
	v_mul_f64 v[0:1], v[132:133], v[128:129]
	v_fma_f64 v[114:115], v[116:117], v[110:111], v[2:3]
	v_mul_f64 v[2:3], v[130:131], v[128:129]
	s_delay_alu instid0(VALU_DEP_3) | instskip(SKIP_1) | instid1(VALU_DEP_1)
	v_fma_f64 v[128:129], v[130:131], v[126:127], -v[0:1]
	v_add_co_u32 v0, s1, 0x3000, v140
	v_add_co_ci_u32_e64 v1, s1, 0, v141, s1
	s_delay_alu instid0(VALU_DEP_4)
	v_fma_f64 v[130:131], v[132:133], v[126:127], v[2:3]
	s_clause 0x1
	global_load_b128 v[149:152], v[0:1], off offset:384
	global_load_b128 v[173:176], v[0:1], off offset:1152
	s_waitcnt vmcnt(1) lgkmcnt(1)
	v_mul_f64 v[2:3], v[171:172], v[151:152]
	v_mul_f64 v[4:5], v[169:170], v[151:152]
	s_delay_alu instid0(VALU_DEP_2) | instskip(NEXT) | instid1(VALU_DEP_2)
	v_fma_f64 v[151:152], v[169:170], v[149:150], -v[2:3]
	v_fma_f64 v[153:154], v[171:172], v[149:150], v[4:5]
	s_clause 0x1
	global_load_b128 v[169:172], v[0:1], off offset:2496
	global_load_b128 v[181:184], v[0:1], off offset:3264
	ds_load_b128 v[185:188], v155 offset:6336
	ds_load_b128 v[189:192], v155 offset:7104
	s_waitcnt vmcnt(1) lgkmcnt(1)
	v_mul_f64 v[0:1], v[187:188], v[171:172]
	v_mul_f64 v[2:3], v[185:186], v[171:172]
	s_delay_alu instid0(VALU_DEP_2) | instskip(NEXT) | instid1(VALU_DEP_2)
	v_fma_f64 v[185:186], v[185:186], v[169:170], -v[0:1]
	v_fma_f64 v[187:188], v[187:188], v[169:170], v[2:3]
	v_mul_f64 v[0:1], v[120:121], v[136:137]
	v_mul_f64 v[2:3], v[118:119], v[136:137]
	s_delay_alu instid0(VALU_DEP_2) | instskip(NEXT) | instid1(VALU_DEP_2)
	v_fma_f64 v[116:117], v[118:119], v[134:135], -v[0:1]
	v_fma_f64 v[118:119], v[120:121], v[134:135], v[2:3]
	;; [unrolled: 5-line block ×4, first 2 shown]
	s_waitcnt vmcnt(0) lgkmcnt(0)
	v_mul_f64 v[0:1], v[191:192], v[183:184]
	v_mul_f64 v[2:3], v[189:190], v[183:184]
	s_delay_alu instid0(VALU_DEP_2) | instskip(NEXT) | instid1(VALU_DEP_2)
	v_fma_f64 v[132:133], v[189:190], v[181:182], -v[0:1]
	v_fma_f64 v[134:135], v[191:192], v[181:182], v[2:3]
	ds_store_b128 v155, v[112:115]
	ds_store_b128 v155, v[116:119] offset:768
	ds_store_b128 v155, v[128:131] offset:2112
	;; [unrolled: 1-line block ×7, first 2 shown]
	s_and_saveexec_b32 s2, vcc_lo
	s_cbranch_execz .LBB0_17
; %bb.16:
	v_add_co_u32 v0, s1, 0x1000, v108
	s_delay_alu instid0(VALU_DEP_1)
	v_add_co_ci_u32_e64 v1, s1, 0, v109, s1
	s_clause 0x3
	global_load_b128 v[110:113], v[108:109], off offset:1536
	global_load_b128 v[114:117], v[108:109], off offset:3648
	;; [unrolled: 1-line block ×4, first 2 shown]
	ds_load_b128 v[126:129], v155 offset:1536
	ds_load_b128 v[130:133], v155 offset:3648
	;; [unrolled: 1-line block ×4, first 2 shown]
	s_waitcnt vmcnt(3) lgkmcnt(3)
	v_mul_f64 v[0:1], v[128:129], v[112:113]
	v_mul_f64 v[2:3], v[126:127], v[112:113]
	s_waitcnt vmcnt(2) lgkmcnt(2)
	v_mul_f64 v[4:5], v[132:133], v[116:117]
	v_mul_f64 v[6:7], v[130:131], v[116:117]
	s_waitcnt vmcnt(1) lgkmcnt(1)
	v_mul_f64 v[8:9], v[136:137], v[120:121]
	v_mul_f64 v[10:11], v[134:135], v[120:121]
	s_waitcnt vmcnt(0) lgkmcnt(0)
	v_mul_f64 v[12:13], v[147:148], v[124:125]
	v_mul_f64 v[14:15], v[145:146], v[124:125]
	v_fma_f64 v[108:109], v[126:127], v[110:111], -v[0:1]
	v_fma_f64 v[110:111], v[128:129], v[110:111], v[2:3]
	v_fma_f64 v[112:113], v[130:131], v[114:115], -v[4:5]
	v_fma_f64 v[114:115], v[132:133], v[114:115], v[6:7]
	;; [unrolled: 2-line block ×4, first 2 shown]
	ds_store_b128 v155, v[108:111] offset:1536
	ds_store_b128 v155, v[112:115] offset:3648
	ds_store_b128 v155, v[116:119] offset:5760
	ds_store_b128 v155, v[120:123] offset:7872
.LBB0_17:
	s_or_b32 exec_lo, exec_lo, s2
	s_waitcnt lgkmcnt(0)
	s_barrier
	buffer_gl0_inv
	ds_load_b128 v[108:111], v155
	ds_load_b128 v[112:115], v155 offset:768
	ds_load_b128 v[120:123], v155 offset:2112
	;; [unrolled: 1-line block ×7, first 2 shown]
	s_and_saveexec_b32 s1, vcc_lo
	s_cbranch_execz .LBB0_19
; %bb.18:
	ds_load_b128 v[96:99], v155 offset:1536
	ds_load_b128 v[100:103], v155 offset:3648
	;; [unrolled: 1-line block ×4, first 2 shown]
.LBB0_19:
	s_or_b32 exec_lo, exec_lo, s1
	s_waitcnt lgkmcnt(3)
	v_add_f64 v[0:1], v[108:109], -v[136:137]
	s_waitcnt lgkmcnt(1)
	v_add_f64 v[6:7], v[122:123], -v[134:135]
	;; [unrolled: 2-line block ×3, first 2 shown]
	v_add_f64 v[12:13], v[116:117], -v[124:125]
	s_barrier
	buffer_gl0_inv
	v_add_f64 v[2:3], v[110:111], -v[138:139]
	v_add_f64 v[4:5], v[120:121], -v[132:133]
	;; [unrolled: 1-line block ×8, first 2 shown]
	v_fma_f64 v[92:93], v[108:109], 2.0, -v[0:1]
	v_add_f64 v[108:109], v[0:1], v[6:7]
	v_fma_f64 v[106:107], v[122:123], 2.0, -v[6:7]
	v_fma_f64 v[100:101], v[100:101], 2.0, -v[20:21]
	v_fma_f64 v[94:95], v[110:111], 2.0, -v[2:3]
	v_fma_f64 v[104:105], v[120:121], 2.0, -v[4:5]
	v_fma_f64 v[142:143], v[96:97], 2.0, -v[16:17]
	v_fma_f64 v[145:146], v[98:99], 2.0, -v[18:19]
	v_fma_f64 v[102:103], v[102:103], 2.0, -v[22:23]
	v_fma_f64 v[136:137], v[112:113], 2.0, -v[8:9]
	v_fma_f64 v[138:139], v[114:115], 2.0, -v[10:11]
	v_fma_f64 v[120:121], v[116:117], 2.0, -v[12:13]
	v_fma_f64 v[122:123], v[118:119], 2.0, -v[14:15]
	v_add_f64 v[96:97], v[16:17], v[22:23]
	v_add_f64 v[98:99], v[18:19], -v[20:21]
	v_add_f64 v[110:111], v[2:3], -v[4:5]
	v_add_f64 v[112:113], v[8:9], v[14:15]
	v_add_f64 v[114:115], v[10:11], -v[12:13]
	v_fma_f64 v[124:125], v[0:1], 2.0, -v[108:109]
	scratch_load_b32 v0, off, off offset:116 ; 4-byte Folded Reload
	v_add_f64 v[118:119], v[94:95], -v[106:107]
	v_add_f64 v[116:117], v[92:93], -v[104:105]
	;; [unrolled: 1-line block ×6, first 2 shown]
	v_fma_f64 v[104:105], v[16:17], 2.0, -v[96:97]
	v_fma_f64 v[106:107], v[18:19], 2.0, -v[98:99]
	;; [unrolled: 1-line block ×11, first 2 shown]
	s_waitcnt vmcnt(0)
	ds_store_b128 v0, v[116:119] offset:32
	ds_store_b128 v0, v[108:111] offset:48
	ds_store_b128 v0, v[132:135]
	ds_store_b128 v0, v[124:127] offset:16
	ds_store_b128 v255, v[136:139]
	ds_store_b128 v255, v[128:131] offset:16
	ds_store_b128 v255, v[120:123] offset:32
	;; [unrolled: 1-line block ×3, first 2 shown]
	s_and_saveexec_b32 s1, vcc_lo
	s_cbranch_execz .LBB0_21
; %bb.20:
	scratch_load_b32 v0, off, off offset:144 ; 4-byte Folded Reload
	s_waitcnt vmcnt(0)
	ds_store_b128 v0, v[92:95]
	ds_store_b128 v0, v[104:107] offset:16
	ds_store_b128 v0, v[100:103] offset:32
	ds_store_b128 v0, v[96:99] offset:48
.LBB0_21:
	s_or_b32 exec_lo, exec_lo, s1
	s_waitcnt lgkmcnt(0)
	s_barrier
	buffer_gl0_inv
	ds_load_b128 v[108:111], v155
	ds_load_b128 v[112:115], v155 offset:768
	ds_load_b128 v[128:131], v155 offset:2112
	;; [unrolled: 1-line block ×7, first 2 shown]
	s_and_saveexec_b32 s1, vcc_lo
	s_cbranch_execz .LBB0_23
; %bb.22:
	ds_load_b128 v[92:95], v155 offset:1536
	ds_load_b128 v[104:107], v155 offset:3648
	;; [unrolled: 1-line block ×4, first 2 shown]
.LBB0_23:
	s_or_b32 exec_lo, exec_lo, s1
	s_waitcnt lgkmcnt(5)
	v_mul_f64 v[0:1], v[50:51], v[130:131]
	v_mul_f64 v[2:3], v[50:51], v[128:129]
	s_waitcnt lgkmcnt(3)
	v_mul_f64 v[4:5], v[46:47], v[134:135]
	v_mul_f64 v[6:7], v[46:47], v[132:133]
	s_waitcnt lgkmcnt(1)
	v_mul_f64 v[8:9], v[42:43], v[138:139]
	v_mul_f64 v[10:11], v[42:43], v[136:137]
	v_mul_f64 v[12:13], v[50:51], v[118:119]
	v_mul_f64 v[14:15], v[50:51], v[116:117]
	;; [unrolled: 1-line block ×4, first 2 shown]
	s_waitcnt lgkmcnt(0)
	v_mul_f64 v[20:21], v[42:43], v[126:127]
	v_mul_f64 v[22:23], v[42:43], v[124:125]
	v_mul_f64 v[142:143], v[50:51], v[106:107]
	v_mul_f64 v[50:51], v[50:51], v[104:105]
	v_mul_f64 v[145:146], v[46:47], v[102:103]
	v_mul_f64 v[46:47], v[46:47], v[100:101]
	s_barrier
	buffer_gl0_inv
	v_fma_f64 v[0:1], v[48:49], v[128:129], v[0:1]
	v_fma_f64 v[2:3], v[48:49], v[130:131], -v[2:3]
	v_fma_f64 v[4:5], v[44:45], v[132:133], v[4:5]
	v_fma_f64 v[6:7], v[44:45], v[134:135], -v[6:7]
	;; [unrolled: 2-line block ×3, first 2 shown]
	v_fma_f64 v[12:13], v[48:49], v[116:117], v[12:13]
	v_mul_f64 v[116:117], v[42:43], v[98:99]
	v_mul_f64 v[42:43], v[42:43], v[96:97]
	v_fma_f64 v[14:15], v[48:49], v[118:119], -v[14:15]
	v_fma_f64 v[16:17], v[44:45], v[120:121], v[16:17]
	v_fma_f64 v[18:19], v[44:45], v[122:123], -v[18:19]
	v_fma_f64 v[20:21], v[40:41], v[124:125], v[20:21]
	;; [unrolled: 2-line block ×4, first 2 shown]
	v_fma_f64 v[44:45], v[44:45], v[102:103], -v[46:47]
	v_add_f64 v[4:5], v[108:109], -v[4:5]
	v_add_f64 v[6:7], v[110:111], -v[6:7]
	;; [unrolled: 1-line block ×4, first 2 shown]
	v_fma_f64 v[46:47], v[40:41], v[96:97], v[116:117]
	v_fma_f64 v[40:41], v[40:41], v[98:99], -v[42:43]
	v_add_f64 v[16:17], v[112:113], -v[16:17]
	v_add_f64 v[18:19], v[114:115], -v[18:19]
	;; [unrolled: 1-line block ×6, first 2 shown]
	v_fma_f64 v[50:51], v[108:109], 2.0, -v[4:5]
	v_fma_f64 v[122:123], v[110:111], 2.0, -v[6:7]
	v_fma_f64 v[0:1], v[0:1], 2.0, -v[8:9]
	v_fma_f64 v[2:3], v[2:3], 2.0, -v[10:11]
	v_add_f64 v[96:97], v[4:5], v[10:11]
	v_add_f64 v[46:47], v[118:119], -v[46:47]
	v_add_f64 v[40:41], v[48:49], -v[40:41]
	;; [unrolled: 1-line block ×3, first 2 shown]
	v_fma_f64 v[124:125], v[112:113], 2.0, -v[16:17]
	v_fma_f64 v[126:127], v[114:115], 2.0, -v[18:19]
	;; [unrolled: 1-line block ×4, first 2 shown]
	v_add_f64 v[100:101], v[16:17], v[22:23]
	v_add_f64 v[102:103], v[18:19], -v[20:21]
	v_fma_f64 v[92:93], v[92:93], 2.0, -v[42:43]
	v_fma_f64 v[94:95], v[94:95], 2.0, -v[128:129]
	v_add_f64 v[104:105], v[50:51], -v[0:1]
	v_add_f64 v[106:107], v[122:123], -v[2:3]
	v_fma_f64 v[112:113], v[4:5], 2.0, -v[96:97]
	v_fma_f64 v[0:1], v[118:119], 2.0, -v[46:47]
	;; [unrolled: 1-line block ×3, first 2 shown]
	v_add_f64 v[44:45], v[42:43], v[40:41]
	v_add_f64 v[46:47], v[128:129], -v[46:47]
	v_fma_f64 v[114:115], v[6:7], 2.0, -v[98:99]
	v_add_f64 v[108:109], v[124:125], -v[12:13]
	v_add_f64 v[110:111], v[126:127], -v[14:15]
	v_fma_f64 v[116:117], v[16:17], 2.0, -v[100:101]
	v_fma_f64 v[118:119], v[18:19], 2.0, -v[102:103]
	;; [unrolled: 1-line block ×4, first 2 shown]
	v_add_f64 v[48:49], v[92:93], -v[0:1]
	v_add_f64 v[50:51], v[94:95], -v[2:3]
	v_fma_f64 v[40:41], v[42:43], 2.0, -v[44:45]
	v_fma_f64 v[42:43], v[128:129], 2.0, -v[46:47]
	;; [unrolled: 1-line block ×4, first 2 shown]
	ds_store_b128 v144, v[104:107] offset:128
	ds_store_b128 v144, v[96:99] offset:192
	ds_store_b128 v144, v[120:123]
	ds_store_b128 v144, v[112:115] offset:64
	ds_store_b128 v156, v[124:127]
	ds_store_b128 v156, v[116:119] offset:64
	ds_store_b128 v156, v[108:111] offset:128
	;; [unrolled: 1-line block ×3, first 2 shown]
	s_and_saveexec_b32 s1, vcc_lo
	s_cbranch_execz .LBB0_25
; %bb.24:
	s_clause 0x1
	scratch_load_b32 v0, off, off offset:136
	scratch_load_b32 v1, off, off offset:148
	v_fma_f64 v[94:95], v[94:95], 2.0, -v[50:51]
	v_fma_f64 v[92:93], v[92:93], 2.0, -v[48:49]
	s_waitcnt vmcnt(0)
	v_and_or_b32 v0, 0x3f0, v1, v0
	s_delay_alu instid0(VALU_DEP_1)
	v_lshlrev_b32_e32 v0, 4, v0
	ds_store_b128 v0, v[92:95]
	ds_store_b128 v0, v[40:43] offset:64
	ds_store_b128 v0, v[48:51] offset:128
	;; [unrolled: 1-line block ×3, first 2 shown]
.LBB0_25:
	s_or_b32 exec_lo, exec_lo, s1
	s_waitcnt lgkmcnt(0)
	s_barrier
	buffer_gl0_inv
	ds_load_b128 v[100:103], v155
	ds_load_b128 v[92:95], v155 offset:768
	ds_load_b128 v[116:119], v155 offset:5632
	;; [unrolled: 1-line block ×8, first 2 shown]
	s_and_saveexec_b32 s1, s0
	s_cbranch_execz .LBB0_27
; %bb.26:
	ds_load_b128 v[40:43], v155 offset:2304
	ds_load_b128 v[48:51], v155 offset:5120
	;; [unrolled: 1-line block ×3, first 2 shown]
.LBB0_27:
	s_or_b32 exec_lo, exec_lo, s1
	s_waitcnt lgkmcnt(4)
	v_mul_f64 v[4:5], v[38:39], v[124:125]
	v_mul_f64 v[6:7], v[34:35], v[116:117]
	;; [unrolled: 1-line block ×4, first 2 shown]
	s_waitcnt lgkmcnt(2)
	v_mul_f64 v[12:13], v[38:39], v[120:121]
	v_mul_f64 v[14:15], v[34:35], v[104:105]
	;; [unrolled: 1-line block ×3, first 2 shown]
	s_waitcnt lgkmcnt(1)
	v_mul_f64 v[20:21], v[38:39], v[108:109]
	v_mul_f64 v[16:17], v[38:39], v[110:111]
	s_mov_b32 s2, 0xe8584caa
	s_mov_b32 s3, 0xbfebb67a
	s_mov_b32 s11, 0x3febb67a
	s_mov_b32 s10, s2
	s_waitcnt lgkmcnt(0)
	s_barrier
	buffer_gl0_inv
	v_mul_f64 v[8:9], v[38:39], v[122:123]
	v_mul_f64 v[18:19], v[34:35], v[114:115]
	;; [unrolled: 1-line block ×3, first 2 shown]
	v_fma_f64 v[4:5], v[36:37], v[126:127], -v[4:5]
	v_fma_f64 v[6:7], v[32:33], v[118:119], -v[6:7]
	v_fma_f64 v[0:1], v[36:37], v[124:125], v[0:1]
	v_fma_f64 v[2:3], v[32:33], v[116:117], v[2:3]
	v_fma_f64 v[12:13], v[36:37], v[122:123], -v[12:13]
	v_fma_f64 v[14:15], v[32:33], v[106:107], -v[14:15]
	v_fma_f64 v[10:11], v[32:33], v[104:105], v[10:11]
	v_fma_f64 v[20:21], v[36:37], v[110:111], -v[20:21]
	v_fma_f64 v[16:17], v[36:37], v[108:109], v[16:17]
	v_fma_f64 v[8:9], v[36:37], v[120:121], v[8:9]
	;; [unrolled: 1-line block ×3, first 2 shown]
	v_fma_f64 v[22:23], v[32:33], v[114:115], -v[22:23]
	v_add_f64 v[106:107], v[4:5], v[6:7]
	v_add_f64 v[116:117], v[100:101], v[0:1]
	;; [unrolled: 1-line block ×3, first 2 shown]
	v_add_f64 v[0:1], v[0:1], -v[2:3]
	v_add_f64 v[110:111], v[12:13], v[14:15]
	v_add_f64 v[118:119], v[4:5], -v[6:7]
	v_add_f64 v[4:5], v[102:103], v[4:5]
	v_add_f64 v[122:123], v[94:95], v[12:13]
	v_add_f64 v[12:13], v[12:13], -v[14:15]
	v_add_f64 v[124:125], v[96:97], v[16:17]
	v_add_f64 v[126:127], v[98:99], v[20:21]
	;; [unrolled: 1-line block ×6, first 2 shown]
	v_add_f64 v[8:9], v[8:9], -v[10:11]
	v_add_f64 v[20:21], v[20:21], -v[22:23]
	;; [unrolled: 1-line block ×3, first 2 shown]
	v_fma_f64 v[130:131], v[106:107], -0.5, v[102:103]
	v_fma_f64 v[128:129], v[104:105], -0.5, v[100:101]
	;; [unrolled: 1-line block ×3, first 2 shown]
	v_add_f64 v[94:95], v[4:5], v[6:7]
	v_add_f64 v[100:101], v[124:125], v[18:19]
	;; [unrolled: 1-line block ×3, first 2 shown]
	v_fma_f64 v[132:133], v[108:109], -0.5, v[92:93]
	v_add_f64 v[92:93], v[116:117], v[2:3]
	v_fma_f64 v[136:137], v[112:113], -0.5, v[96:97]
	v_fma_f64 v[138:139], v[114:115], -0.5, v[98:99]
	v_add_f64 v[96:97], v[120:121], v[10:11]
	v_add_f64 v[98:99], v[122:123], v[14:15]
	v_fma_f64 v[106:107], v[0:1], s[10:11], v[130:131]
	v_fma_f64 v[110:111], v[0:1], s[2:3], v[130:131]
	scratch_load_b32 v0, off, off offset:132 ; 4-byte Folded Reload
	v_fma_f64 v[104:105], v[118:119], s[2:3], v[128:129]
	v_fma_f64 v[108:109], v[118:119], s[10:11], v[128:129]
	;; [unrolled: 1-line block ×4, first 2 shown]
	s_waitcnt vmcnt(0)
	ds_store_b128 v0, v[92:95]
	ds_store_b128 v0, v[104:107] offset:256
	ds_store_b128 v0, v[108:111] offset:512
	scratch_load_b32 v0, off, off offset:128 ; 4-byte Folded Reload
	v_fma_f64 v[112:113], v[12:13], s[2:3], v[132:133]
	v_fma_f64 v[116:117], v[12:13], s[10:11], v[132:133]
	;; [unrolled: 1-line block ×6, first 2 shown]
	s_waitcnt vmcnt(0)
	ds_store_b128 v0, v[96:99]
	ds_store_b128 v0, v[112:115] offset:256
	ds_store_b128 v0, v[116:119] offset:512
	scratch_load_b32 v0, off, off offset:124 ; 4-byte Folded Reload
	s_waitcnt vmcnt(0)
	ds_store_b128 v0, v[100:103]
	ds_store_b128 v0, v[120:123] offset:256
	ds_store_b128 v0, v[124:127] offset:512
	s_and_saveexec_b32 s1, s0
	s_cbranch_execz .LBB0_29
; %bb.28:
	v_mul_f64 v[4:5], v[38:39], v[50:51]
	v_mul_f64 v[6:7], v[34:35], v[46:47]
	;; [unrolled: 1-line block ×4, first 2 shown]
	s_delay_alu instid0(VALU_DEP_4) | instskip(NEXT) | instid1(VALU_DEP_4)
	v_fma_f64 v[4:5], v[36:37], v[48:49], v[4:5]
	v_fma_f64 v[6:7], v[32:33], v[44:45], v[6:7]
	s_delay_alu instid0(VALU_DEP_4) | instskip(NEXT) | instid1(VALU_DEP_4)
	v_fma_f64 v[0:1], v[36:37], v[50:51], -v[0:1]
	v_fma_f64 v[2:3], v[32:33], v[46:47], -v[2:3]
	s_delay_alu instid0(VALU_DEP_3) | instskip(NEXT) | instid1(VALU_DEP_3)
	v_add_f64 v[10:11], v[6:7], v[4:5]
	v_add_f64 v[14:15], v[0:1], v[42:43]
	s_delay_alu instid0(VALU_DEP_3)
	v_add_f64 v[8:9], v[2:3], v[0:1]
	v_add_f64 v[0:1], v[0:1], -v[2:3]
	v_add_f64 v[12:13], v[4:5], -v[6:7]
	v_add_f64 v[4:5], v[40:41], v[4:5]
	v_fma_f64 v[10:11], v[10:11], -0.5, v[40:41]
	v_add_f64 v[34:35], v[2:3], v[14:15]
	v_fma_f64 v[8:9], v[8:9], -0.5, v[42:43]
	s_delay_alu instid0(VALU_DEP_4) | instskip(NEXT) | instid1(VALU_DEP_4)
	v_add_f64 v[32:33], v[6:7], v[4:5]
	v_fma_f64 v[40:41], v[0:1], s[2:3], v[10:11]
	v_fma_f64 v[36:37], v[0:1], s[10:11], v[10:11]
	s_clause 0x1
	scratch_load_b32 v0, off, off offset:120
	scratch_load_b32 v1, off, off offset:140
	v_fma_f64 v[42:43], v[12:13], s[10:11], v[8:9]
	v_fma_f64 v[38:39], v[12:13], s[2:3], v[8:9]
	s_waitcnt vmcnt(1)
	v_mul_u32_u24_e32 v0, 48, v0
	s_waitcnt vmcnt(0)
	s_delay_alu instid0(VALU_DEP_1) | instskip(NEXT) | instid1(VALU_DEP_1)
	v_or_b32_e32 v0, v0, v1
	v_lshlrev_b32_e32 v0, 4, v0
	ds_store_b128 v0, v[32:35]
	ds_store_b128 v0, v[40:43] offset:256
	ds_store_b128 v0, v[36:39] offset:512
.LBB0_29:
	s_or_b32 exec_lo, exec_lo, s1
	s_waitcnt lgkmcnt(0)
	s_barrier
	buffer_gl0_inv
	ds_load_b128 v[32:35], v155 offset:768
	ds_load_b128 v[40:43], v155 offset:7680
	;; [unrolled: 1-line block ×9, first 2 shown]
	s_mov_b32 s0, 0xf8bb580b
	s_mov_b32 s2, 0x8764f0ba
	s_mov_b32 s12, 0x8eee2c13
	s_mov_b32 s14, 0xd9c712b6
	s_mov_b32 s1, 0xbfe14ced
	s_mov_b32 s3, 0x3feaeb8c
	s_mov_b32 s13, 0xbfed1bb4
	s_mov_b32 s15, 0x3fda9628
	s_mov_b32 s18, 0x43842ef
	s_mov_b32 s20, 0x640f44db
	s_mov_b32 s19, 0xbfefac9e
	s_mov_b32 s21, 0xbfc2375f
	s_mov_b32 s24, 0xbb3a28a1
	s_mov_b32 s26, 0x7f775887
	s_mov_b32 s25, 0xbfe82f19
	s_waitcnt lgkmcnt(7)
	v_mul_f64 v[4:5], v[54:55], v[40:41]
	s_waitcnt lgkmcnt(6)
	v_mul_f64 v[6:7], v[62:63], v[44:45]
	v_mul_f64 v[0:1], v[58:59], v[34:35]
	;; [unrolled: 1-line block ×3, first 2 shown]
	s_waitcnt lgkmcnt(5)
	v_mul_f64 v[8:9], v[66:67], v[48:49]
	v_mul_f64 v[10:11], v[62:63], v[46:47]
	s_waitcnt lgkmcnt(4)
	v_mul_f64 v[12:13], v[74:75], v[92:93]
	s_waitcnt lgkmcnt(3)
	v_mul_f64 v[14:15], v[82:83], v[96:97]
	v_mul_f64 v[16:17], v[54:55], v[42:43]
	;; [unrolled: 1-line block ×5, first 2 shown]
	s_waitcnt lgkmcnt(2)
	v_mul_f64 v[22:23], v[70:71], v[102:103]
	v_mul_f64 v[62:63], v[70:71], v[100:101]
	s_waitcnt lgkmcnt(0)
	v_mul_f64 v[66:67], v[78:79], v[110:111]
	v_mul_f64 v[70:71], v[78:79], v[108:109]
	;; [unrolled: 1-line block ×4, first 2 shown]
	s_mov_b32 s27, 0xbfe4f49e
	s_mov_b32 s30, 0xfd768dbf
	;; [unrolled: 1-line block ×15, first 2 shown]
	v_fma_f64 v[36:37], v[52:53], v[42:43], -v[4:5]
	v_fma_f64 v[4:5], v[60:61], v[46:47], -v[6:7]
	v_fma_f64 v[0:1], v[56:57], v[32:33], v[0:1]
	v_fma_f64 v[2:3], v[56:57], v[34:35], -v[2:3]
	ds_load_b128 v[56:59], v155 offset:4608
	ds_load_b128 v[32:35], v155
	v_fma_f64 v[38:39], v[64:65], v[50:51], -v[8:9]
	v_fma_f64 v[6:7], v[60:61], v[44:45], v[10:11]
	v_fma_f64 v[12:13], v[72:73], v[94:95], -v[12:13]
	v_fma_f64 v[44:45], v[80:81], v[98:99], -v[14:15]
	v_fma_f64 v[14:15], v[72:73], v[92:93], v[18:19]
	v_fma_f64 v[46:47], v[80:81], v[96:97], v[54:55]
	;; [unrolled: 1-line block ×4, first 2 shown]
	v_fma_f64 v[18:19], v[68:69], v[102:103], -v[62:63]
	v_fma_f64 v[42:43], v[64:65], v[48:49], v[20:21]
	v_fma_f64 v[50:51], v[88:89], v[106:107], -v[78:79]
	v_fma_f64 v[20:21], v[76:77], v[108:109], v[66:67]
	;; [unrolled: 2-line block ×3, first 2 shown]
	s_waitcnt lgkmcnt(1)
	v_mul_f64 v[82:83], v[86:87], v[58:59]
	v_mul_f64 v[86:87], v[86:87], v[56:57]
	s_waitcnt lgkmcnt(0)
	v_add_f64 v[8:9], v[32:33], v[0:1]
	v_add_f64 v[10:11], v[34:35], v[2:3]
	;; [unrolled: 1-line block ×6, first 2 shown]
	v_add_f64 v[0:1], v[0:1], -v[40:41]
	v_add_f64 v[70:71], v[14:15], -v[46:47]
	v_add_f64 v[66:67], v[6:7], v[42:43]
	v_add_f64 v[72:73], v[16:17], v[20:21]
	;; [unrolled: 1-line block ×3, first 2 shown]
	v_add_f64 v[76:77], v[18:19], -v[22:23]
	v_add_f64 v[78:79], v[16:17], -v[20:21]
	v_fma_f64 v[52:53], v[84:85], v[56:57], v[82:83]
	v_fma_f64 v[54:55], v[84:85], v[58:59], -v[86:87]
	v_add_f64 v[58:59], v[4:5], -v[38:39]
	v_add_f64 v[56:57], v[2:3], -v[36:37]
	v_add_f64 v[2:3], v[2:3], v[36:37]
	v_add_f64 v[8:9], v[8:9], v[6:7]
	;; [unrolled: 1-line block ×3, first 2 shown]
	v_add_f64 v[10:11], v[12:13], -v[44:45]
	v_add_f64 v[6:7], v[6:7], -v[42:43]
	v_mul_f64 v[106:107], v[60:61], s[14:15]
	v_mul_f64 v[110:111], v[60:61], s[34:35]
	;; [unrolled: 1-line block ×14, first 2 shown]
	v_add_f64 v[80:81], v[48:49], v[52:53]
	v_add_f64 v[82:83], v[50:51], v[54:55]
	v_mul_f64 v[104:105], v[58:59], s[12:13]
	v_mul_f64 v[88:89], v[56:57], s[0:1]
	;; [unrolled: 1-line block ×13, first 2 shown]
	v_add_f64 v[84:85], v[48:49], -v[52:53]
	v_add_f64 v[8:9], v[8:9], v[14:15]
	v_add_f64 v[4:5], v[4:5], v[12:13]
	v_mul_f64 v[12:13], v[60:61], s[26:27]
	v_mul_f64 v[14:15], v[58:59], s[36:37]
	;; [unrolled: 1-line block ×7, first 2 shown]
	v_fma_f64 v[190:191], v[6:7], s[30:31], v[110:111]
	v_mul_f64 v[128:129], v[10:11], s[0:1]
	v_fma_f64 v[194:195], v[6:7], s[18:19], v[114:115]
	v_add_f64 v[86:87], v[50:51], -v[54:55]
	v_mul_f64 v[10:11], v[10:11], s[24:25]
	v_fma_f64 v[110:111], v[6:7], s[36:37], v[110:111]
	v_fma_f64 v[198:199], v[70:71], s[30:31], v[122:123]
	;; [unrolled: 1-line block ×3, first 2 shown]
	v_mul_f64 v[146:147], v[76:77], s[30:31]
	v_mul_f64 v[148:149], v[74:75], s[34:35]
	v_mul_f64 v[76:77], v[76:77], s[16:17]
	v_mul_f64 v[74:75], v[74:75], s[14:15]
	v_fma_f64 v[126:127], v[70:71], s[16:17], v[126:127]
	v_fma_f64 v[122:123], v[70:71], s[36:37], v[122:123]
	v_mul_f64 v[152:153], v[82:83], s[34:35]
	v_mul_f64 v[158:159], v[82:83], s[2:3]
	;; [unrolled: 1-line block ×4, first 2 shown]
	v_fma_f64 v[168:169], v[64:65], s[14:15], v[92:93]
	v_fma_f64 v[170:171], v[0:1], s[16:17], v[94:95]
	v_fma_f64 v[92:93], v[64:65], s[14:15], -v[92:93]
	v_fma_f64 v[172:173], v[64:65], s[20:21], v[96:97]
	v_fma_f64 v[174:175], v[0:1], s[22:23], v[98:99]
	v_fma_f64 v[96:97], v[64:65], s[20:21], -v[96:97]
	;; [unrolled: 3-line block ×3, first 2 shown]
	v_fma_f64 v[180:181], v[64:65], s[34:35], v[56:57]
	v_fma_f64 v[182:183], v[0:1], s[36:37], v[2:3]
	v_add_f64 v[8:9], v[8:9], v[16:17]
	v_add_f64 v[4:5], v[4:5], v[18:19]
	v_mul_f64 v[16:17], v[82:83], s[20:21]
	v_fma_f64 v[18:19], v[64:65], s[2:3], v[88:89]
	v_fma_f64 v[82:83], v[0:1], s[10:11], v[90:91]
	v_fma_f64 v[88:89], v[64:65], s[2:3], -v[88:89]
	v_fma_f64 v[90:91], v[0:1], s[0:1], v[90:91]
	v_fma_f64 v[94:95], v[0:1], s[12:13], v[94:95]
	;; [unrolled: 1-line block ×4, first 2 shown]
	v_fma_f64 v[56:57], v[64:65], s[34:35], -v[56:57]
	v_fma_f64 v[0:1], v[0:1], s[30:31], v[2:3]
	v_fma_f64 v[2:3], v[66:67], s[14:15], v[104:105]
	;; [unrolled: 1-line block ×3, first 2 shown]
	v_fma_f64 v[104:105], v[66:67], s[14:15], -v[104:105]
	v_fma_f64 v[106:107], v[6:7], s[12:13], v[106:107]
	v_fma_f64 v[184:185], v[66:67], s[26:27], v[108:109]
	;; [unrolled: 1-line block ×3, first 2 shown]
	v_fma_f64 v[108:109], v[66:67], s[26:27], -v[108:109]
	v_fma_f64 v[188:189], v[66:67], s[34:35], v[14:15]
	v_fma_f64 v[14:15], v[66:67], s[34:35], -v[14:15]
	v_fma_f64 v[192:193], v[66:67], s[20:21], v[112:113]
	;; [unrolled: 2-line block ×3, first 2 shown]
	v_fma_f64 v[196:197], v[68:69], s[34:35], v[120:121]
	v_fma_f64 v[200:201], v[68:69], s[14:15], v[124:125]
	v_fma_f64 v[120:121], v[68:69], s[34:35], -v[120:121]
	v_add_f64 v[168:169], v[32:33], v[168:169]
	v_add_f64 v[170:171], v[34:35], v[170:171]
	;; [unrolled: 1-line block ×13, first 2 shown]
	v_fma_f64 v[48:49], v[6:7], s[22:23], v[114:115]
	v_add_f64 v[18:19], v[32:33], v[18:19]
	v_fma_f64 v[50:51], v[66:67], s[2:3], v[58:59]
	v_add_f64 v[88:89], v[32:33], v[88:89]
	v_add_f64 v[90:91], v[34:35], v[90:91]
	v_fma_f64 v[114:115], v[6:7], s[0:1], v[60:61]
	v_fma_f64 v[58:59], v[66:67], s[2:3], -v[58:59]
	v_fma_f64 v[6:7], v[6:7], s[10:11], v[60:61]
	v_add_f64 v[32:33], v[32:33], v[56:57]
	v_add_f64 v[0:1], v[34:35], v[0:1]
	;; [unrolled: 1-line block ×6, first 2 shown]
	v_fma_f64 v[60:61], v[68:69], s[20:21], v[116:117]
	v_fma_f64 v[66:67], v[70:71], s[22:23], v[118:119]
	v_fma_f64 v[118:119], v[70:71], s[18:19], v[118:119]
	v_fma_f64 v[82:83], v[68:69], s[2:3], -v[128:129]
	v_fma_f64 v[102:103], v[70:71], s[0:1], v[130:131]
	v_fma_f64 v[124:125], v[68:69], s[14:15], -v[124:125]
	v_fma_f64 v[116:117], v[68:69], s[20:21], -v[116:117]
	v_mul_f64 v[156:157], v[86:87], s[10:11]
	v_fma_f64 v[204:205], v[72:73], s[20:21], v[136:137]
	v_fma_f64 v[206:207], v[78:79], s[18:19], v[138:139]
	v_mul_f64 v[160:161], v[86:87], s[24:25]
	v_mul_f64 v[164:165], v[86:87], s[16:17]
	v_fma_f64 v[136:137], v[72:73], s[20:21], -v[136:137]
	v_add_f64 v[92:93], v[108:109], v[92:93]
	v_mul_f64 v[150:151], v[86:87], s[30:31]
	v_add_f64 v[108:109], v[190:191], v[174:175]
	v_add_f64 v[14:15], v[14:15], v[96:97]
	;; [unrolled: 1-line block ×3, first 2 shown]
	v_mul_f64 v[86:87], v[86:87], s[18:19]
	v_add_f64 v[100:101], v[112:113], v[100:101]
	v_fma_f64 v[138:139], v[78:79], s[22:23], v[138:139]
	v_add_f64 v[8:9], v[8:9], v[52:53]
	v_add_f64 v[4:5], v[4:5], v[54:55]
	v_fma_f64 v[52:53], v[68:69], s[2:3], v[128:129]
	v_add_f64 v[2:3], v[2:3], v[18:19]
	v_fma_f64 v[54:55], v[70:71], s[10:11], v[130:131]
	v_add_f64 v[18:19], v[104:105], v[88:89]
	v_add_f64 v[88:89], v[106:107], v[90:91]
	;; [unrolled: 1-line block ×6, first 2 shown]
	v_fma_f64 v[128:129], v[68:69], s[26:27], v[10:11]
	v_fma_f64 v[130:131], v[70:71], s[28:29], v[62:63]
	v_add_f64 v[50:51], v[50:51], v[180:181]
	v_add_f64 v[112:113], v[114:115], v[182:183]
	v_fma_f64 v[10:11], v[68:69], s[26:27], -v[10:11]
	v_fma_f64 v[62:63], v[70:71], s[24:25], v[62:63]
	v_add_f64 v[32:33], v[58:59], v[32:33]
	v_add_f64 v[0:1], v[6:7], v[0:1]
	;; [unrolled: 1-line block ×5, first 2 shown]
	v_fma_f64 v[68:69], v[72:73], s[26:27], v[132:133]
	v_fma_f64 v[70:71], v[78:79], s[28:29], v[134:135]
	;; [unrolled: 1-line block ×4, first 2 shown]
	v_fma_f64 v[56:57], v[72:73], s[2:3], -v[142:143]
	v_fma_f64 v[114:115], v[72:73], s[14:15], v[76:77]
	v_fma_f64 v[132:133], v[72:73], s[26:27], -v[132:133]
	v_add_f64 v[92:93], v[120:121], v[92:93]
	v_fma_f64 v[98:99], v[72:73], s[34:35], -v[146:147]
	v_fma_f64 v[110:111], v[78:79], s[30:31], v[148:149]
	v_fma_f64 v[58:59], v[78:79], s[0:1], v[144:145]
	v_add_f64 v[14:15], v[124:125], v[14:15]
	v_fma_f64 v[120:121], v[80:81], s[14:15], -v[164:165]
	v_add_f64 v[82:83], v[82:83], v[100:101]
	v_fma_f64 v[100:101], v[84:85], s[10:11], v[158:159]
	v_fma_f64 v[124:125], v[80:81], s[20:21], v[86:87]
	v_add_f64 v[8:9], v[8:9], v[20:21]
	v_add_f64 v[4:5], v[4:5], v[22:23]
	;; [unrolled: 1-line block ×4, first 2 shown]
	v_fma_f64 v[22:23], v[72:73], s[2:3], v[142:143]
	v_fma_f64 v[34:35], v[78:79], s[10:11], v[144:145]
	v_add_f64 v[60:61], v[118:119], v[88:89]
	v_add_f64 v[88:89], v[196:197], v[90:91]
	;; [unrolled: 1-line block ×5, first 2 shown]
	v_fma_f64 v[64:65], v[72:73], s[34:35], v[146:147]
	v_add_f64 v[52:53], v[52:53], v[96:97]
	v_add_f64 v[54:55], v[54:55], v[168:169]
	v_fma_f64 v[142:143], v[78:79], s[12:13], v[74:75]
	v_add_f64 v[50:51], v[128:129], v[50:51]
	v_add_f64 v[96:97], v[130:131], v[112:113]
	v_fma_f64 v[72:73], v[72:73], s[14:15], -v[76:77]
	v_fma_f64 v[74:75], v[78:79], s[16:17], v[74:75]
	v_add_f64 v[10:11], v[10:11], v[32:33]
	v_add_f64 v[0:1], v[62:63], v[0:1]
	;; [unrolled: 1-line block ×6, first 2 shown]
	v_fma_f64 v[48:49], v[84:85], s[0:1], v[158:159]
	v_fma_f64 v[102:103], v[84:85], s[28:29], v[162:163]
	;; [unrolled: 1-line block ×4, first 2 shown]
	v_fma_f64 v[62:63], v[80:81], s[2:3], -v[156:157]
	v_fma_f64 v[112:113], v[84:85], s[24:25], v[162:163]
	v_fma_f64 v[116:117], v[80:81], s[14:15], v[164:165]
	;; [unrolled: 1-line block ×6, first 2 shown]
	v_add_f64 v[84:85], v[136:137], v[92:93]
	v_fma_f64 v[76:77], v[80:81], s[34:35], v[150:151]
	v_add_f64 v[8:9], v[8:9], v[46:47]
	v_add_f64 v[4:5], v[4:5], v[44:45]
	;; [unrolled: 1-line block ×3, first 2 shown]
	v_fma_f64 v[46:47], v[80:81], s[2:3], v[156:157]
	v_add_f64 v[2:3], v[68:69], v[2:3]
	v_fma_f64 v[66:67], v[80:81], s[26:27], v[160:161]
	v_add_f64 v[44:45], v[134:135], v[60:61]
	v_add_f64 v[60:61], v[204:205], v[88:89]
	;; [unrolled: 1-line block ×5, first 2 shown]
	v_fma_f64 v[144:145], v[80:81], s[34:35], -v[150:151]
	v_add_f64 v[52:53], v[64:65], v[52:53]
	v_add_f64 v[64:65], v[94:95], v[54:55]
	v_fma_f64 v[108:109], v[80:81], s[26:27], -v[160:161]
	v_fma_f64 v[80:81], v[80:81], s[20:21], -v[86:87]
	v_add_f64 v[86:87], v[114:115], v[50:51]
	v_add_f64 v[88:89], v[142:143], v[96:97]
	;; [unrolled: 1-line block ×10, first 2 shown]
	s_mul_i32 s1, s5, 0x84
	s_mov_b32 s2, 0xf07c1f08
	s_mov_b32 s3, 0x3f5f07c1
	s_mul_hi_u32 s11, s4, 0xfffffea4
	s_mul_i32 s10, s4, 0xfffffea4
	v_add_f64 v[50:51], v[62:63], v[84:85]
	v_add_f64 v[8:9], v[8:9], v[42:43]
	;; [unrolled: 1-line block ×25, first 2 shown]
	ds_store_b128 v155, v[46:49] offset:1536
	ds_store_b128 v155, v[54:57] offset:2304
	;; [unrolled: 1-line block ×9, first 2 shown]
	ds_store_b128 v155, v[38:41]
	ds_store_b128 v155, v[32:35] offset:768
	s_waitcnt lgkmcnt(0)
	s_barrier
	buffer_gl0_inv
	ds_load_b128 v[32:35], v155
	ds_load_b128 v[36:39], v155 offset:2112
	ds_load_b128 v[40:43], v155 offset:4224
	;; [unrolled: 1-line block ×7, first 2 shown]
	s_clause 0x5
	scratch_load_b128 v[76:79], off, off offset:20
	scratch_load_b128 v[82:85], off, off offset:52
	;; [unrolled: 1-line block ×4, first 2 shown]
	scratch_load_b64 v[68:69], off, off
	scratch_load_b32 v75, off, off offset:8
	s_waitcnt lgkmcnt(1)
	v_mul_f64 v[64:65], v[26:27], v[58:59]
	v_mul_f64 v[26:27], v[26:27], v[56:57]
	s_waitcnt lgkmcnt(0)
	v_mul_f64 v[66:67], v[30:31], v[62:63]
	v_mul_f64 v[30:31], v[30:31], v[60:61]
	s_waitcnt vmcnt(5)
	v_mul_f64 v[0:1], v[78:79], v[34:35]
	v_mul_f64 v[2:3], v[78:79], v[32:33]
	scratch_load_b128 v[78:81], off, off offset:36 ; 16-byte Folded Reload
	s_waitcnt vmcnt(5)
	v_mul_f64 v[4:5], v[84:85], v[38:39]
	v_mul_f64 v[6:7], v[84:85], v[36:37]
	scratch_load_b128 v[84:87], off, off offset:68 ; 16-byte Folded Reload
	s_waitcnt vmcnt(5)
	v_mul_f64 v[8:9], v[94:95], v[42:43]
	v_mul_f64 v[10:11], v[94:95], v[40:41]
	s_waitcnt vmcnt(4)
	v_mul_f64 v[12:13], v[90:91], v[46:47]
	v_mul_f64 v[14:15], v[90:91], v[44:45]
	s_waitcnt vmcnt(2)
	v_mad_u64_u32 v[70:71], null, s4, v75, 0
	v_mov_b32_e32 v74, v68
	s_delay_alu instid0(VALU_DEP_1) | instskip(SKIP_1) | instid1(VALU_DEP_1)
	v_mad_u64_u32 v[68:69], null, s6, v74, 0
	s_mul_i32 s6, s4, 0x84
	v_mad_u64_u32 v[72:73], null, s7, v74, v[69:70]
	s_delay_alu instid0(VALU_DEP_4) | instskip(SKIP_1) | instid1(SALU_CYCLE_1)
	v_mov_b32_e32 v69, v71
	s_mul_hi_u32 s7, s4, 0x84
	s_add_i32 s7, s7, s1
	s_sub_i32 s1, s11, s4
	s_delay_alu instid0(VALU_DEP_1) | instskip(NEXT) | instid1(VALU_DEP_3)
	v_mad_u64_u32 v[73:74], null, s5, v75, v[69:70]
	v_mov_b32_e32 v69, v72
	s_lshl_b64 s[6:7], s[6:7], 4
	s_mulk_i32 s5, 0xfea4
	v_fma_f64 v[0:1], v[76:77], v[32:33], v[0:1]
	v_fma_f64 v[32:33], v[76:77], v[34:35], -v[2:3]
	s_delay_alu instid0(VALU_DEP_4)
	v_mov_b32_e32 v71, v73
	v_fma_f64 v[34:35], v[82:83], v[36:37], v[4:5]
	v_fma_f64 v[36:37], v[82:83], v[38:39], -v[6:7]
	v_lshlrev_b64 v[2:3], 4, v[68:69]
	v_fma_f64 v[38:39], v[92:93], v[40:41], v[8:9]
	v_fma_f64 v[40:41], v[92:93], v[42:43], -v[10:11]
	v_fma_f64 v[42:43], v[88:89], v[44:45], v[12:13]
	v_fma_f64 v[44:45], v[88:89], v[46:47], -v[14:15]
	v_lshlrev_b64 v[4:5], 4, v[70:71]
	v_add_co_u32 v2, s0, s8, v2
	s_delay_alu instid0(VALU_DEP_1) | instskip(SKIP_1) | instid1(SALU_CYCLE_1)
	v_add_co_ci_u32_e64 v3, s0, s9, v3, s0
	s_add_i32 s11, s1, s5
	s_lshl_b64 s[4:5], s[10:11], 4
	v_mul_f64 v[6:7], v[34:35], s[2:3]
	v_mul_f64 v[8:9], v[36:37], s[2:3]
	;; [unrolled: 1-line block ×5, first 2 shown]
	s_waitcnt vmcnt(1)
	v_mul_f64 v[16:17], v[80:81], v[50:51]
	v_mul_f64 v[18:19], v[80:81], v[48:49]
	s_waitcnt vmcnt(0)
	v_mul_f64 v[20:21], v[86:87], v[54:55]
	v_mul_f64 v[22:23], v[86:87], v[52:53]
	s_delay_alu instid0(VALU_DEP_4) | instskip(NEXT) | instid1(VALU_DEP_4)
	v_fma_f64 v[46:47], v[78:79], v[48:49], v[16:17]
	v_fma_f64 v[48:49], v[78:79], v[50:51], -v[18:19]
	v_mul_f64 v[16:17], v[44:45], s[2:3]
	v_fma_f64 v[50:51], v[84:85], v[52:53], v[20:21]
	v_fma_f64 v[52:53], v[84:85], v[54:55], -v[22:23]
	v_fma_f64 v[54:55], v[24:25], v[56:57], v[64:65]
	v_fma_f64 v[56:57], v[24:25], v[58:59], -v[26:27]
	;; [unrolled: 2-line block ×3, first 2 shown]
	v_add_co_u32 v62, s0, v2, v4
	s_delay_alu instid0(VALU_DEP_1) | instskip(SKIP_2) | instid1(VALU_DEP_4)
	v_add_co_ci_u32_e64 v63, s0, v3, v5, s0
	v_mul_f64 v[2:3], v[0:1], s[2:3]
	v_mul_f64 v[4:5], v[32:33], s[2:3]
	v_add_co_u32 v64, s0, v62, s6
	s_delay_alu instid0(VALU_DEP_1) | instskip(NEXT) | instid1(VALU_DEP_2)
	v_add_co_ci_u32_e64 v65, s0, s7, v63, s0
	v_add_co_u32 v34, s0, v64, s6
	s_delay_alu instid0(VALU_DEP_1) | instskip(NEXT) | instid1(VALU_DEP_2)
	v_add_co_ci_u32_e64 v35, s0, s7, v65, s0
	;; [unrolled: 3-line block ×4, first 2 shown]
	v_add_co_u32 v40, s0, v38, s6
	s_delay_alu instid0(VALU_DEP_1)
	v_add_co_ci_u32_e64 v41, s0, s7, v39, s0
	v_mul_f64 v[18:19], v[46:47], s[2:3]
	v_mul_f64 v[20:21], v[48:49], s[2:3]
	;; [unrolled: 1-line block ×8, first 2 shown]
	v_add_co_u32 v42, s0, v40, s6
	s_delay_alu instid0(VALU_DEP_1) | instskip(NEXT) | instid1(VALU_DEP_2)
	v_add_co_ci_u32_e64 v43, s0, s7, v41, s0
	v_add_co_u32 v0, s0, v42, s6
	s_delay_alu instid0(VALU_DEP_1)
	v_add_co_ci_u32_e64 v1, s0, s7, v43, s0
	s_clause 0x4
	global_store_b128 v[62:63], v[2:5], off
	global_store_b128 v[64:65], v[6:9], off
	;; [unrolled: 1-line block ×8, first 2 shown]
	s_and_b32 exec_lo, exec_lo, vcc_lo
	s_cbranch_execz .LBB0_31
; %bb.30:
	s_clause 0x1
	global_load_b128 v[2:5], v[140:141], off offset:1536
	global_load_b128 v[6:9], v[140:141], off offset:3648
	scratch_load_b64 v[14:15], off, off offset:12 ; 8-byte Folded Reload
	v_add_co_u32 v0, vcc_lo, v0, s4
	v_add_co_ci_u32_e32 v1, vcc_lo, s5, v1, vcc_lo
	s_waitcnt vmcnt(0)
	s_clause 0x1
	global_load_b128 v[10:13], v[14:15], off offset:1664
	global_load_b128 v[14:17], v[14:15], off offset:3776
	ds_load_b128 v[18:21], v155 offset:1536
	ds_load_b128 v[22:25], v155 offset:3648
	;; [unrolled: 1-line block ×4, first 2 shown]
	s_waitcnt lgkmcnt(3)
	v_mul_f64 v[34:35], v[20:21], v[4:5]
	v_mul_f64 v[4:5], v[18:19], v[4:5]
	s_waitcnt lgkmcnt(2)
	v_mul_f64 v[36:37], v[24:25], v[8:9]
	v_mul_f64 v[8:9], v[22:23], v[8:9]
	s_delay_alu instid0(VALU_DEP_4) | instskip(NEXT) | instid1(VALU_DEP_4)
	v_fma_f64 v[18:19], v[18:19], v[2:3], v[34:35]
	v_fma_f64 v[4:5], v[2:3], v[20:21], -v[4:5]
	s_delay_alu instid0(VALU_DEP_4) | instskip(NEXT) | instid1(VALU_DEP_4)
	v_fma_f64 v[20:21], v[22:23], v[6:7], v[36:37]
	v_fma_f64 v[8:9], v[6:7], v[24:25], -v[8:9]
	s_delay_alu instid0(VALU_DEP_4) | instskip(NEXT) | instid1(VALU_DEP_4)
	v_mul_f64 v[2:3], v[18:19], s[2:3]
	v_mul_f64 v[4:5], v[4:5], s[2:3]
	s_delay_alu instid0(VALU_DEP_4) | instskip(NEXT) | instid1(VALU_DEP_4)
	v_mul_f64 v[6:7], v[20:21], s[2:3]
	v_mul_f64 v[8:9], v[8:9], s[2:3]
	v_add_co_u32 v18, vcc_lo, v0, s6
	v_add_co_ci_u32_e32 v19, vcc_lo, s7, v1, vcc_lo
	s_delay_alu instid0(VALU_DEP_2) | instskip(NEXT) | instid1(VALU_DEP_2)
	v_add_co_u32 v20, vcc_lo, v18, s6
	v_add_co_ci_u32_e32 v21, vcc_lo, s7, v19, vcc_lo
	s_waitcnt vmcnt(1) lgkmcnt(1)
	v_mul_f64 v[38:39], v[28:29], v[12:13]
	v_mul_f64 v[12:13], v[26:27], v[12:13]
	s_waitcnt vmcnt(0) lgkmcnt(0)
	v_mul_f64 v[40:41], v[32:33], v[16:17]
	v_mul_f64 v[16:17], v[30:31], v[16:17]
	s_delay_alu instid0(VALU_DEP_4) | instskip(NEXT) | instid1(VALU_DEP_4)
	v_fma_f64 v[22:23], v[26:27], v[10:11], v[38:39]
	v_fma_f64 v[12:13], v[10:11], v[28:29], -v[12:13]
	s_delay_alu instid0(VALU_DEP_4) | instskip(NEXT) | instid1(VALU_DEP_4)
	v_fma_f64 v[24:25], v[30:31], v[14:15], v[40:41]
	v_fma_f64 v[16:17], v[14:15], v[32:33], -v[16:17]
	s_delay_alu instid0(VALU_DEP_4) | instskip(NEXT) | instid1(VALU_DEP_4)
	v_mul_f64 v[10:11], v[22:23], s[2:3]
	v_mul_f64 v[12:13], v[12:13], s[2:3]
	s_delay_alu instid0(VALU_DEP_4) | instskip(NEXT) | instid1(VALU_DEP_4)
	v_mul_f64 v[14:15], v[24:25], s[2:3]
	v_mul_f64 v[16:17], v[16:17], s[2:3]
	v_add_co_u32 v22, vcc_lo, v20, s6
	v_add_co_ci_u32_e32 v23, vcc_lo, s7, v21, vcc_lo
	global_store_b128 v[0:1], v[2:5], off
	global_store_b128 v[18:19], v[6:9], off
	;; [unrolled: 1-line block ×4, first 2 shown]
.LBB0_31:
	s_nop 0
	s_sendmsg sendmsg(MSG_DEALLOC_VGPRS)
	s_endpgm
	.section	.rodata,"a",@progbits
	.p2align	6, 0x0
	.amdhsa_kernel bluestein_single_fwd_len528_dim1_dp_op_CI_CI
		.amdhsa_group_segment_fixed_size 8448
		.amdhsa_private_segment_fixed_size 156
		.amdhsa_kernarg_size 104
		.amdhsa_user_sgpr_count 15
		.amdhsa_user_sgpr_dispatch_ptr 0
		.amdhsa_user_sgpr_queue_ptr 0
		.amdhsa_user_sgpr_kernarg_segment_ptr 1
		.amdhsa_user_sgpr_dispatch_id 0
		.amdhsa_user_sgpr_private_segment_size 0
		.amdhsa_wavefront_size32 1
		.amdhsa_uses_dynamic_stack 0
		.amdhsa_enable_private_segment 1
		.amdhsa_system_sgpr_workgroup_id_x 1
		.amdhsa_system_sgpr_workgroup_id_y 0
		.amdhsa_system_sgpr_workgroup_id_z 0
		.amdhsa_system_sgpr_workgroup_info 0
		.amdhsa_system_vgpr_workitem_id 0
		.amdhsa_next_free_vgpr 256
		.amdhsa_next_free_sgpr 38
		.amdhsa_reserve_vcc 1
		.amdhsa_float_round_mode_32 0
		.amdhsa_float_round_mode_16_64 0
		.amdhsa_float_denorm_mode_32 3
		.amdhsa_float_denorm_mode_16_64 3
		.amdhsa_dx10_clamp 1
		.amdhsa_ieee_mode 1
		.amdhsa_fp16_overflow 0
		.amdhsa_workgroup_processor_mode 1
		.amdhsa_memory_ordered 1
		.amdhsa_forward_progress 0
		.amdhsa_shared_vgpr_count 0
		.amdhsa_exception_fp_ieee_invalid_op 0
		.amdhsa_exception_fp_denorm_src 0
		.amdhsa_exception_fp_ieee_div_zero 0
		.amdhsa_exception_fp_ieee_overflow 0
		.amdhsa_exception_fp_ieee_underflow 0
		.amdhsa_exception_fp_ieee_inexact 0
		.amdhsa_exception_int_div_zero 0
	.end_amdhsa_kernel
	.text
.Lfunc_end0:
	.size	bluestein_single_fwd_len528_dim1_dp_op_CI_CI, .Lfunc_end0-bluestein_single_fwd_len528_dim1_dp_op_CI_CI
                                        ; -- End function
	.section	.AMDGPU.csdata,"",@progbits
; Kernel info:
; codeLenInByte = 15920
; NumSgprs: 40
; NumVgprs: 256
; ScratchSize: 156
; MemoryBound: 0
; FloatMode: 240
; IeeeMode: 1
; LDSByteSize: 8448 bytes/workgroup (compile time only)
; SGPRBlocks: 4
; VGPRBlocks: 31
; NumSGPRsForWavesPerEU: 40
; NumVGPRsForWavesPerEU: 256
; Occupancy: 5
; WaveLimiterHint : 1
; COMPUTE_PGM_RSRC2:SCRATCH_EN: 1
; COMPUTE_PGM_RSRC2:USER_SGPR: 15
; COMPUTE_PGM_RSRC2:TRAP_HANDLER: 0
; COMPUTE_PGM_RSRC2:TGID_X_EN: 1
; COMPUTE_PGM_RSRC2:TGID_Y_EN: 0
; COMPUTE_PGM_RSRC2:TGID_Z_EN: 0
; COMPUTE_PGM_RSRC2:TIDIG_COMP_CNT: 0
	.text
	.p2alignl 7, 3214868480
	.fill 96, 4, 3214868480
	.type	__hip_cuid_a306d5dae85a739,@object ; @__hip_cuid_a306d5dae85a739
	.section	.bss,"aw",@nobits
	.globl	__hip_cuid_a306d5dae85a739
__hip_cuid_a306d5dae85a739:
	.byte	0                               ; 0x0
	.size	__hip_cuid_a306d5dae85a739, 1

	.ident	"AMD clang version 19.0.0git (https://github.com/RadeonOpenCompute/llvm-project roc-6.4.0 25133 c7fe45cf4b819c5991fe208aaa96edf142730f1d)"
	.section	".note.GNU-stack","",@progbits
	.addrsig
	.addrsig_sym __hip_cuid_a306d5dae85a739
	.amdgpu_metadata
---
amdhsa.kernels:
  - .args:
      - .actual_access:  read_only
        .address_space:  global
        .offset:         0
        .size:           8
        .value_kind:     global_buffer
      - .actual_access:  read_only
        .address_space:  global
        .offset:         8
        .size:           8
        .value_kind:     global_buffer
      - .actual_access:  read_only
        .address_space:  global
        .offset:         16
        .size:           8
        .value_kind:     global_buffer
      - .actual_access:  read_only
        .address_space:  global
        .offset:         24
        .size:           8
        .value_kind:     global_buffer
      - .actual_access:  read_only
        .address_space:  global
        .offset:         32
        .size:           8
        .value_kind:     global_buffer
      - .offset:         40
        .size:           8
        .value_kind:     by_value
      - .address_space:  global
        .offset:         48
        .size:           8
        .value_kind:     global_buffer
      - .address_space:  global
        .offset:         56
        .size:           8
        .value_kind:     global_buffer
      - .address_space:  global
        .offset:         64
        .size:           8
        .value_kind:     global_buffer
      - .address_space:  global
        .offset:         72
        .size:           8
        .value_kind:     global_buffer
      - .offset:         80
        .size:           4
        .value_kind:     by_value
      - .address_space:  global
        .offset:         88
        .size:           8
        .value_kind:     global_buffer
      - .address_space:  global
        .offset:         96
        .size:           8
        .value_kind:     global_buffer
    .group_segment_fixed_size: 8448
    .kernarg_segment_align: 8
    .kernarg_segment_size: 104
    .language:       OpenCL C
    .language_version:
      - 2
      - 0
    .max_flat_workgroup_size: 48
    .name:           bluestein_single_fwd_len528_dim1_dp_op_CI_CI
    .private_segment_fixed_size: 156
    .sgpr_count:     40
    .sgpr_spill_count: 0
    .symbol:         bluestein_single_fwd_len528_dim1_dp_op_CI_CI.kd
    .uniform_work_group_size: 1
    .uses_dynamic_stack: false
    .vgpr_count:     256
    .vgpr_spill_count: 38
    .wavefront_size: 32
    .workgroup_processor_mode: 1
amdhsa.target:   amdgcn-amd-amdhsa--gfx1100
amdhsa.version:
  - 1
  - 2
...

	.end_amdgpu_metadata
